;; amdgpu-corpus repo=ROCm/rocFFT kind=compiled arch=gfx1201 opt=O3
	.text
	.amdgcn_target "amdgcn-amd-amdhsa--gfx1201"
	.amdhsa_code_object_version 6
	.protected	bluestein_single_back_len1521_dim1_dp_op_CI_CI ; -- Begin function bluestein_single_back_len1521_dim1_dp_op_CI_CI
	.globl	bluestein_single_back_len1521_dim1_dp_op_CI_CI
	.p2align	8
	.type	bluestein_single_back_len1521_dim1_dp_op_CI_CI,@function
bluestein_single_back_len1521_dim1_dp_op_CI_CI: ; @bluestein_single_back_len1521_dim1_dp_op_CI_CI
; %bb.0:
	s_load_b128 s[16:19], s[0:1], 0x28
	v_mul_u32_u24_e32 v1, 0x231, v0
	s_mov_b32 s2, exec_lo
	v_mov_b32_e32 v5, 0
	s_delay_alu instid0(VALU_DEP_2) | instskip(NEXT) | instid1(VALU_DEP_1)
	v_lshrrev_b32_e32 v1, 16, v1
	v_add_nc_u32_e32 v4, ttmp9, v1
	s_wait_kmcnt 0x0
	s_delay_alu instid0(VALU_DEP_1)
	v_cmpx_gt_u64_e64 s[16:17], v[4:5]
	s_cbranch_execz .LBB0_18
; %bb.1:
	s_clause 0x1
	s_load_b128 s[4:7], s[0:1], 0x18
	s_load_b128 s[8:11], s[0:1], 0x0
	v_mul_lo_u16 v1, 0x75, v1
	s_mov_b32 s28, 0x42a4c3d2
	s_mov_b32 s26, 0x66966769
	;; [unrolled: 1-line block ×4, first 2 shown]
	v_sub_nc_u16 v24, v0, v1
	s_mov_b32 s16, 0x4bc48dbf
	s_mov_b32 s35, 0xbfddbe06
	;; [unrolled: 1-line block ×3, first 2 shown]
	s_delay_alu instid0(VALU_DEP_1)
	v_dual_mov_b32 v5, v4 :: v_dual_and_b32 v196, 0xffff, v24
	s_mov_b32 s29, 0xbfea55e2
	s_mov_b32 s27, 0xbfefc445
	;; [unrolled: 1-line block ×3, first 2 shown]
	scratch_store_b64 off, v[5:6], off      ; 8-byte Folded Spill
	v_lshlrev_b32_e32 v255, 4, v196
	s_mov_b32 s23, 0xbfe5384d
	s_mov_b32 s17, 0xbfcea1e5
	s_wait_kmcnt 0x0
	s_load_b128 s[12:15], s[4:5], 0x0
	s_mov_b32 s30, 0xe00740e9
	s_mov_b32 s20, 0x1ea71119
	;; [unrolled: 1-line block ×10, first 2 shown]
	s_load_b64 s[0:1], s[0:1], 0x38
	s_wait_kmcnt 0x0
	v_mad_co_u64_u32 v[0:1], null, s14, v4, 0
	v_mad_co_u64_u32 v[2:3], null, s12, v196, 0
	s_mul_u64 s[2:3], s[12:13], 0x750
	s_delay_alu instid0(VALU_DEP_1) | instskip(SKIP_2) | instid1(VALU_DEP_1)
	v_mad_co_u64_u32 v[4:5], null, s15, v4, v[1:2]
	s_mov_b32 s14, 0xb2365da1
	s_mov_b32 s15, 0xbfd6b1d8
	v_mad_co_u64_u32 v[5:6], null, s13, v196, v[3:4]
	v_mov_b32_e32 v1, v4
	s_mov_b32 s12, 0xd0032e0c
	s_mov_b32 s13, 0xbfe7f3cc
	s_delay_alu instid0(VALU_DEP_1) | instskip(NEXT) | instid1(VALU_DEP_3)
	v_lshlrev_b64_e32 v[0:1], 4, v[0:1]
	v_mov_b32_e32 v3, v5
	s_delay_alu instid0(VALU_DEP_2) | instskip(NEXT) | instid1(VALU_DEP_2)
	v_add_co_u32 v0, vcc_lo, s18, v0
	v_lshlrev_b64_e32 v[2:3], 4, v[2:3]
	s_delay_alu instid0(VALU_DEP_4) | instskip(SKIP_2) | instid1(VALU_DEP_2)
	v_add_co_ci_u32_e32 v1, vcc_lo, s19, v1, vcc_lo
	s_mov_b32 s18, 0xebaa3ed8
	s_mov_b32 s19, 0x3fbedb7d
	v_add_co_u32 v0, vcc_lo, v0, v2
	s_wait_alu 0xfffd
	v_add_co_ci_u32_e32 v1, vcc_lo, v1, v3, vcc_lo
	s_delay_alu instid0(VALU_DEP_2) | instskip(SKIP_1) | instid1(VALU_DEP_2)
	v_add_co_u32 v8, vcc_lo, v0, s2
	s_wait_alu 0xfffd
	v_add_co_ci_u32_e32 v9, vcc_lo, s3, v1, vcc_lo
	global_load_b128 v[0:3], v[0:1], off
	s_clause 0x1
	global_load_b128 v[29:32], v255, s[8:9]
	global_load_b128 v[25:28], v255, s[8:9] offset:1872
	global_load_b128 v[4:7], v[8:9], off
	v_add_co_u32 v12, vcc_lo, v8, s2
	s_wait_alu 0xfffd
	v_add_co_ci_u32_e32 v13, vcc_lo, s3, v9, vcc_lo
	global_load_b128 v[33:36], v255, s[8:9] offset:3744
	v_add_co_u32 v22, vcc_lo, v12, s2
	global_load_b128 v[8:11], v[12:13], off
	s_wait_alu 0xfffd
	v_add_co_ci_u32_e32 v23, vcc_lo, s3, v13, vcc_lo
	s_wait_loadcnt 0x4
	v_mul_f64_e32 v[14:15], v[2:3], v[31:32]
	v_mul_f64_e32 v[16:17], v[0:1], v[31:32]
	scratch_store_b128 off, v[29:32], off offset:24 ; 16-byte Folded Spill
	s_wait_loadcnt 0x3
	scratch_store_b128 off, v[25:28], off offset:8 ; 16-byte Folded Spill
	s_wait_loadcnt 0x2
	v_mul_f64_e32 v[18:19], v[6:7], v[27:28]
	v_mul_f64_e32 v[20:21], v[4:5], v[27:28]
	v_fma_f64 v[0:1], v[0:1], v[29:30], v[14:15]
	v_fma_f64 v[2:3], v[2:3], v[29:30], -v[16:17]
	global_load_b128 v[29:32], v255, s[8:9] offset:5616
	global_load_b128 v[12:15], v[22:23], off
	v_fma_f64 v[4:5], v[4:5], v[25:26], v[18:19]
	s_wait_loadcnt 0x2
	v_mul_f64_e32 v[16:17], v[10:11], v[35:36]
	v_mul_f64_e32 v[18:19], v[8:9], v[35:36]
	v_fma_f64 v[6:7], v[6:7], v[25:26], -v[20:21]
	v_add_co_u32 v20, vcc_lo, v22, s2
	s_wait_alu 0xfffd
	v_add_co_ci_u32_e32 v21, vcc_lo, s3, v23, vcc_lo
	scratch_store_b128 off, v[33:36], off offset:40 ; 16-byte Folded Spill
	v_fma_f64 v[8:9], v[8:9], v[33:34], v[16:17]
	v_fma_f64 v[10:11], v[10:11], v[33:34], -v[18:19]
	s_wait_loadcnt 0x1
	scratch_store_b128 off, v[29:32], off offset:60 ; 16-byte Folded Spill
	s_wait_loadcnt 0x0
	v_mul_f64_e32 v[16:17], v[14:15], v[31:32]
	v_mul_f64_e32 v[18:19], v[12:13], v[31:32]
	s_delay_alu instid0(VALU_DEP_2) | instskip(NEXT) | instid1(VALU_DEP_2)
	v_fma_f64 v[12:13], v[12:13], v[29:30], v[16:17]
	v_fma_f64 v[14:15], v[14:15], v[29:30], -v[18:19]
	global_load_b128 v[16:19], v[20:21], off
	s_clause 0x1
	global_load_b128 v[27:30], v255, s[8:9] offset:7488
	global_load_b128 v[31:34], v255, s[8:9] offset:9360
	s_wait_loadcnt 0x1
	v_mul_f64_e32 v[25:26], v[16:17], v[29:30]
	v_mul_f64_e32 v[22:23], v[18:19], v[29:30]
	scratch_store_b128 off, v[27:30], off offset:76 ; 16-byte Folded Spill
	s_wait_loadcnt 0x0
	scratch_store_b128 off, v[31:34], off offset:92 ; 16-byte Folded Spill
	v_fma_f64 v[18:19], v[18:19], v[27:28], -v[25:26]
	v_add_co_u32 v25, vcc_lo, v20, s2
	s_wait_alu 0xfffd
	v_add_co_ci_u32_e32 v26, vcc_lo, s3, v21, vcc_lo
	v_fma_f64 v[16:17], v[16:17], v[27:28], v[22:23]
	global_load_b128 v[20:23], v[25:26], off
	s_wait_loadcnt 0x0
	v_mul_f64_e32 v[29:30], v[20:21], v[33:34]
	v_mul_f64_e32 v[27:28], v[22:23], v[33:34]
	s_delay_alu instid0(VALU_DEP_2) | instskip(SKIP_3) | instid1(VALU_DEP_4)
	v_fma_f64 v[22:23], v[22:23], v[31:32], -v[29:30]
	v_add_co_u32 v29, vcc_lo, v25, s2
	s_wait_alu 0xfffd
	v_add_co_ci_u32_e32 v30, vcc_lo, s3, v26, vcc_lo
	v_fma_f64 v[20:21], v[20:21], v[31:32], v[27:28]
	global_load_b128 v[25:28], v[29:30], off
	s_clause 0x1
	global_load_b128 v[35:38], v255, s[8:9] offset:11232
	global_load_b128 v[39:42], v255, s[8:9] offset:13104
	s_wait_loadcnt 0x1
	v_mul_f64_e32 v[33:34], v[25:26], v[37:38]
	v_mul_f64_e32 v[31:32], v[27:28], v[37:38]
	scratch_store_b128 off, v[35:38], off offset:108 ; 16-byte Folded Spill
	s_wait_loadcnt 0x0
	scratch_store_b128 off, v[39:42], off offset:124 ; 16-byte Folded Spill
	v_fma_f64 v[27:28], v[27:28], v[35:36], -v[33:34]
	v_add_co_u32 v33, vcc_lo, v29, s2
	s_wait_alu 0xfffd
	v_add_co_ci_u32_e32 v34, vcc_lo, s3, v30, vcc_lo
	v_fma_f64 v[25:26], v[25:26], v[35:36], v[31:32]
	global_load_b128 v[29:32], v[33:34], off
	s_wait_loadcnt 0x0
	v_mul_f64_e32 v[37:38], v[29:30], v[41:42]
	v_mul_f64_e32 v[35:36], v[31:32], v[41:42]
	s_delay_alu instid0(VALU_DEP_2) | instskip(SKIP_3) | instid1(VALU_DEP_4)
	v_fma_f64 v[31:32], v[31:32], v[39:40], -v[37:38]
	v_add_co_u32 v37, vcc_lo, v33, s2
	s_wait_alu 0xfffd
	v_add_co_ci_u32_e32 v38, vcc_lo, s3, v34, vcc_lo
	v_fma_f64 v[29:30], v[29:30], v[39:40], v[35:36]
	;; [unrolled: 25-line block ×3, first 2 shown]
	global_load_b128 v[41:44], v[45:46], off
	s_clause 0x1
	global_load_b128 v[51:54], v255, s[8:9] offset:18720
	global_load_b128 v[55:58], v255, s[8:9] offset:20592
	s_wait_loadcnt 0x1
	v_mul_f64_e32 v[49:50], v[41:42], v[53:54]
	v_mul_f64_e32 v[47:48], v[43:44], v[53:54]
	scratch_store_b128 off, v[51:54], off offset:172 ; 16-byte Folded Spill
	s_wait_loadcnt 0x0
	scratch_store_b128 off, v[55:58], off offset:188 ; 16-byte Folded Spill
	v_fma_f64 v[43:44], v[43:44], v[51:52], -v[49:50]
	v_add_co_u32 v49, vcc_lo, v45, s2
	s_wait_alu 0xfffd
	v_add_co_ci_u32_e32 v50, vcc_lo, s3, v46, vcc_lo
	v_fma_f64 v[41:42], v[41:42], v[51:52], v[47:48]
	global_load_b128 v[45:48], v[49:50], off
	v_add_co_u32 v49, vcc_lo, v49, s2
	s_wait_alu 0xfffd
	v_add_co_ci_u32_e32 v50, vcc_lo, s3, v50, vcc_lo
	s_mov_b32 s2, 0x93053d00
	s_mov_b32 s3, 0xbfef11f4
	v_cmp_gt_u16_e32 vcc_lo, 39, v24
	s_wait_loadcnt 0x0
	v_mul_f64_e32 v[51:52], v[47:48], v[57:58]
	v_mul_f64_e32 v[53:54], v[45:46], v[57:58]
	s_delay_alu instid0(VALU_DEP_2)
	v_fma_f64 v[45:46], v[45:46], v[55:56], v[51:52]
	global_load_b128 v[49:52], v[49:50], off
	global_load_b128 v[57:60], v255, s[8:9] offset:22464
	v_fma_f64 v[47:48], v[47:48], v[55:56], -v[53:54]
	s_wait_loadcnt 0x0
	v_mul_f64_e32 v[53:54], v[51:52], v[59:60]
	v_mul_f64_e32 v[55:56], v[49:50], v[59:60]
	scratch_store_b128 off, v[57:60], off offset:204 ; 16-byte Folded Spill
	v_fma_f64 v[49:50], v[49:50], v[57:58], v[53:54]
	v_fma_f64 v[51:52], v[51:52], v[57:58], -v[55:56]
	ds_store_b128 v255, v[0:3]
	ds_store_b128 v255, v[4:7] offset:1872
	ds_store_b128 v255, v[8:11] offset:3744
	;; [unrolled: 1-line block ×12, first 2 shown]
	s_load_b128 s[4:7], s[6:7], 0x0
	global_wb scope:SCOPE_SE
	s_wait_storecnt_dscnt 0x0
	s_wait_kmcnt 0x0
	s_barrier_signal -1
	s_barrier_wait -1
	global_inv scope:SCOPE_SE
	ds_load_b128 v[52:55], v255
	ds_load_b128 v[56:59], v255 offset:1872
	ds_load_b128 v[60:63], v255 offset:3744
	;; [unrolled: 1-line block ×9, first 2 shown]
	s_wait_dscnt 0x8
	v_add_f64_e32 v[0:1], v[52:53], v[56:57]
	v_add_f64_e32 v[2:3], v[54:55], v[58:59]
	s_wait_dscnt 0x7
	s_delay_alu instid0(VALU_DEP_2) | instskip(NEXT) | instid1(VALU_DEP_2)
	v_add_f64_e32 v[0:1], v[0:1], v[60:61]
	v_add_f64_e32 v[2:3], v[2:3], v[62:63]
	s_wait_dscnt 0x6
	s_delay_alu instid0(VALU_DEP_2) | instskip(NEXT) | instid1(VALU_DEP_2)
	v_add_f64_e32 v[0:1], v[0:1], v[64:65]
	v_add_f64_e32 v[2:3], v[2:3], v[66:67]
	s_wait_dscnt 0x5
	s_delay_alu instid0(VALU_DEP_2) | instskip(NEXT) | instid1(VALU_DEP_2)
	v_add_f64_e32 v[0:1], v[0:1], v[68:69]
	v_add_f64_e32 v[2:3], v[2:3], v[70:71]
	s_wait_dscnt 0x4
	s_delay_alu instid0(VALU_DEP_2) | instskip(NEXT) | instid1(VALU_DEP_2)
	v_add_f64_e32 v[0:1], v[0:1], v[12:13]
	v_add_f64_e32 v[2:3], v[2:3], v[14:15]
	s_wait_dscnt 0x3
	s_delay_alu instid0(VALU_DEP_2) | instskip(NEXT) | instid1(VALU_DEP_2)
	v_add_f64_e32 v[16:17], v[0:1], v[4:5]
	v_add_f64_e32 v[18:19], v[2:3], v[6:7]
	s_wait_dscnt 0x2
	v_add_f64_e32 v[0:1], v[4:5], v[8:9]
	v_add_f64_e32 v[2:3], v[6:7], v[10:11]
	v_add_f64_e64 v[4:5], v[4:5], -v[8:9]
	v_add_f64_e64 v[6:7], v[6:7], -v[10:11]
	v_add_f64_e32 v[29:30], v[16:17], v[8:9]
	v_add_f64_e32 v[31:32], v[18:19], v[10:11]
	s_wait_dscnt 0x1
	v_add_f64_e32 v[8:9], v[12:13], v[20:21]
	v_add_f64_e32 v[10:11], v[14:15], v[22:23]
	v_add_f64_e64 v[16:17], v[12:13], -v[20:21]
	v_add_f64_e64 v[18:19], v[14:15], -v[22:23]
	s_wait_dscnt 0x0
	v_add_f64_e32 v[12:13], v[68:69], v[25:26]
	v_add_f64_e32 v[14:15], v[70:71], v[27:28]
	v_mul_f64_e32 v[136:137], s[22:23], v[6:7]
	v_mul_f64_e32 v[138:139], s[22:23], v[4:5]
	;; [unrolled: 1-line block ×4, first 2 shown]
	v_add_f64_e32 v[29:30], v[29:30], v[20:21]
	v_add_f64_e32 v[31:32], v[31:32], v[22:23]
	v_add_f64_e64 v[20:21], v[68:69], -v[25:26]
	v_add_f64_e64 v[22:23], v[70:71], -v[27:28]
	v_mul_f64_e32 v[114:115], s[36:37], v[16:17]
	v_mul_f64_e32 v[112:113], s[36:37], v[18:19]
	;; [unrolled: 1-line block ×4, first 2 shown]
	v_add_f64_e32 v[33:34], v[29:30], v[25:26]
	v_add_f64_e32 v[35:36], v[31:32], v[27:28]
	ds_load_b128 v[25:28], v255 offset:18720
	ds_load_b128 v[29:32], v255 offset:20592
	v_mul_f64_e32 v[108:109], s[38:39], v[22:23]
	v_mul_f64_e32 v[110:111], s[38:39], v[20:21]
	;; [unrolled: 1-line block ×4, first 2 shown]
	s_wait_dscnt 0x1
	v_add_f64_e32 v[49:50], v[64:65], v[25:26]
	v_add_f64_e32 v[76:77], v[66:67], v[27:28]
	v_add_f64_e64 v[78:79], v[64:65], -v[25:26]
	v_add_f64_e64 v[80:81], v[66:67], -v[27:28]
	s_wait_dscnt 0x0
	v_add_f64_e64 v[82:83], v[60:61], -v[29:30]
	v_add_f64_e64 v[84:85], v[62:63], -v[31:32]
	v_add_f64_e32 v[86:87], v[60:61], v[29:30]
	v_add_f64_e32 v[88:89], v[62:63], v[31:32]
	;; [unrolled: 1-line block ×4, first 2 shown]
	v_mul_f64_e32 v[126:127], s[40:41], v[78:79]
	v_mul_f64_e32 v[124:125], s[40:41], v[80:81]
	;; [unrolled: 1-line block ×6, first 2 shown]
	s_mov_b32 s39, 0x3fcea1e5
	s_mov_b32 s38, s16
	;; [unrolled: 1-line block ×3, first 2 shown]
	s_wait_alu 0xfffe
	v_mul_f64_e32 v[152:153], s[38:39], v[18:19]
	v_mul_f64_e32 v[154:155], s[38:39], v[16:17]
	s_mov_b32 s40, s28
	v_mul_f64_e32 v[160:161], s[36:37], v[84:85]
	s_wait_alu 0xfffe
	v_mul_f64_e32 v[156:157], s[40:41], v[6:7]
	v_mul_f64_e32 v[158:159], s[40:41], v[4:5]
	v_add_f64_e32 v[29:30], v[25:26], v[29:30]
	v_add_f64_e32 v[31:32], v[27:28], v[31:32]
	ds_load_b128 v[25:28], v255 offset:22464
	v_mul_f64_e32 v[162:163], s[36:37], v[82:83]
	v_mul_f64_e32 v[164:165], s[28:29], v[80:81]
	;; [unrolled: 1-line block ×5, first 2 shown]
	global_wb scope:SCOPE_SE
	s_wait_dscnt 0x0
	s_barrier_signal -1
	s_barrier_wait -1
	global_inv scope:SCOPE_SE
	v_add_f64_e64 v[33:34], v[58:59], -v[27:28]
	v_add_f64_e64 v[35:36], v[56:57], -v[25:26]
	v_add_f64_e32 v[37:38], v[56:57], v[25:26]
	v_add_f64_e32 v[39:40], v[58:59], v[27:28]
	;; [unrolled: 1-line block ×4, first 2 shown]
	v_mul_f64_e32 v[29:30], s[34:35], v[33:34]
	v_mul_f64_e32 v[31:32], s[28:29], v[33:34]
	v_mul_f64_e32 v[41:42], s[26:27], v[33:34]
	v_mul_f64_e32 v[43:44], s[24:25], v[33:34]
	v_mul_f64_e32 v[45:46], s[22:23], v[33:34]
	v_mul_f64_e32 v[33:34], s[16:17], v[33:34]
	v_mul_f64_e32 v[66:67], s[28:29], v[35:36]
	v_mul_f64_e32 v[72:73], s[22:23], v[35:36]
	v_mul_f64_e32 v[70:71], s[24:25], v[35:36]
	v_mul_f64_e32 v[68:69], s[26:27], v[35:36]
	v_fma_f64 v[47:48], v[37:38], s[30:31], -v[29:30]
	v_fma_f64 v[29:30], v[37:38], s[30:31], v[29:30]
	v_fma_f64 v[56:57], v[37:38], s[20:21], -v[31:32]
	v_fma_f64 v[31:32], v[37:38], s[20:21], v[31:32]
	v_fma_f64 v[58:59], v[37:38], s[18:19], -v[41:42]
	v_fma_f64 v[41:42], v[37:38], s[18:19], v[41:42]
	v_fma_f64 v[60:61], v[37:38], s[14:15], -v[43:44]
	v_fma_f64 v[43:44], v[37:38], s[14:15], v[43:44]
	v_fma_f64 v[62:63], v[37:38], s[12:13], -v[45:46]
	v_fma_f64 v[45:46], v[37:38], s[12:13], v[45:46]
	v_fma_f64 v[64:65], v[37:38], s[2:3], -v[33:34]
	v_fma_f64 v[33:34], v[37:38], s[2:3], v[33:34]
	v_mul_f64_e32 v[37:38], s[34:35], v[35:36]
	v_fma_f64 v[90:91], v[39:40], s[20:21], v[66:67]
	v_fma_f64 v[66:67], v[39:40], s[20:21], -v[66:67]
	v_fma_f64 v[96:97], v[39:40], s[12:13], v[72:73]
	v_fma_f64 v[72:73], v[39:40], s[12:13], -v[72:73]
	v_mul_f64_e32 v[35:36], s[16:17], v[35:36]
	v_fma_f64 v[94:95], v[39:40], s[14:15], v[70:71]
	v_fma_f64 v[92:93], v[39:40], s[18:19], v[68:69]
	v_fma_f64 v[68:69], v[39:40], s[18:19], -v[68:69]
	v_fma_f64 v[70:71], v[39:40], s[14:15], -v[70:71]
	s_mov_b32 s35, 0x3fddbe06
	s_wait_alu 0xfffe
	v_mul_f64_e32 v[116:117], s[34:35], v[6:7]
	v_mul_f64_e32 v[118:119], s[34:35], v[4:5]
	;; [unrolled: 1-line block ×8, first 2 shown]
	v_add_f64_e32 v[100:101], v[52:53], v[47:48]
	v_add_f64_e32 v[104:105], v[52:53], v[29:30]
	;; [unrolled: 1-line block ×3, first 2 shown]
	v_fma_f64 v[74:75], v[39:40], s[30:31], v[37:38]
	v_fma_f64 v[37:38], v[39:40], s[30:31], -v[37:38]
	v_fma_f64 v[98:99], v[39:40], s[2:3], v[35:36]
	v_fma_f64 v[35:36], v[39:40], s[2:3], -v[35:36]
	v_add_f64_e32 v[39:40], v[52:53], v[58:59]
	v_add_f64_e32 v[56:57], v[54:55], v[94:95]
	;; [unrolled: 1-line block ×3, first 2 shown]
	v_mul_f64_e32 v[94:95], s[24:25], v[82:83]
	v_mul_f64_e32 v[96:97], s[16:17], v[80:81]
	v_add_f64_e32 v[47:48], v[54:55], v[92:93]
	v_add_f64_e32 v[92:93], v[52:53], v[41:42]
	;; [unrolled: 1-line block ×14, first 2 shown]
	v_mul_f64_e32 v[72:73], s[24:25], v[84:85]
	v_add_f64_e32 v[74:75], v[52:53], v[31:32]
	v_add_f64_e32 v[64:65], v[54:55], v[98:99]
	;; [unrolled: 1-line block ×3, first 2 shown]
	v_fma_f64 v[33:34], v[49:50], s[2:3], -v[96:97]
	v_mul_f64_e32 v[98:99], s[16:17], v[78:79]
	v_add_f64_e32 v[53:54], v[54:55], v[35:36]
	v_fma_f64 v[35:36], v[88:89], s[2:3], v[122:123]
	v_fma_f64 v[31:32], v[86:87], s[14:15], -v[72:73]
	s_delay_alu instid0(VALU_DEP_2) | instskip(SKIP_1) | instid1(VALU_DEP_3)
	v_add_f64_e32 v[35:36], v[35:36], v[47:48]
	v_fma_f64 v[47:48], v[49:50], s[20:21], -v[164:165]
	v_add_f64_e32 v[29:30], v[31:32], v[29:30]
	v_fma_f64 v[31:32], v[88:89], s[14:15], v[94:95]
	s_delay_alu instid0(VALU_DEP_2) | instskip(NEXT) | instid1(VALU_DEP_2)
	v_add_f64_e32 v[29:30], v[33:34], v[29:30]
	v_add_f64_e32 v[31:32], v[31:32], v[37:38]
	v_fma_f64 v[33:34], v[76:77], s[2:3], v[98:99]
	v_fma_f64 v[37:38], v[49:50], s[14:15], -v[124:125]
	s_delay_alu instid0(VALU_DEP_2) | instskip(SKIP_1) | instid1(VALU_DEP_1)
	v_add_f64_e32 v[31:32], v[33:34], v[31:32]
	v_fma_f64 v[33:34], v[12:13], s[12:13], -v[108:109]
	v_add_f64_e32 v[29:30], v[33:34], v[29:30]
	v_fma_f64 v[33:34], v[14:15], s[12:13], v[110:111]
	s_delay_alu instid0(VALU_DEP_1) | instskip(SKIP_1) | instid1(VALU_DEP_1)
	v_add_f64_e32 v[31:32], v[33:34], v[31:32]
	v_fma_f64 v[33:34], v[8:9], s[18:19], -v[112:113]
	v_add_f64_e32 v[29:30], v[33:34], v[29:30]
	v_fma_f64 v[33:34], v[10:11], s[18:19], v[114:115]
	s_delay_alu instid0(VALU_DEP_1) | instskip(SKIP_1) | instid1(VALU_DEP_1)
	;; [unrolled: 5-line block ×3, first 2 shown]
	v_add_f64_e32 v[31:32], v[33:34], v[31:32]
	v_fma_f64 v[33:34], v[86:87], s[2:3], -v[120:121]
	v_add_f64_e32 v[33:34], v[33:34], v[39:40]
	v_fma_f64 v[39:40], v[88:89], s[12:13], v[142:143]
	s_delay_alu instid0(VALU_DEP_2) | instskip(SKIP_1) | instid1(VALU_DEP_3)
	v_add_f64_e32 v[33:34], v[37:38], v[33:34]
	v_fma_f64 v[37:38], v[76:77], s[14:15], v[126:127]
	v_add_f64_e32 v[39:40], v[39:40], v[56:57]
	v_mul_f64_e32 v[55:56], s[34:35], v[84:85]
	s_delay_alu instid0(VALU_DEP_3) | instskip(SKIP_1) | instid1(VALU_DEP_1)
	v_add_f64_e32 v[35:36], v[37:38], v[35:36]
	v_fma_f64 v[37:38], v[12:13], s[30:31], -v[128:129]
	v_add_f64_e32 v[33:34], v[37:38], v[33:34]
	v_fma_f64 v[37:38], v[14:15], s[30:31], v[130:131]
	s_delay_alu instid0(VALU_DEP_1) | instskip(SKIP_1) | instid1(VALU_DEP_1)
	v_add_f64_e32 v[35:36], v[37:38], v[35:36]
	v_fma_f64 v[37:38], v[8:9], s[20:21], -v[132:133]
	v_add_f64_e32 v[33:34], v[37:38], v[33:34]
	v_fma_f64 v[37:38], v[10:11], s[20:21], v[134:135]
	s_delay_alu instid0(VALU_DEP_1) | instskip(SKIP_1) | instid1(VALU_DEP_1)
	;; [unrolled: 5-line block ×3, first 2 shown]
	v_add_f64_e32 v[35:36], v[37:38], v[35:36]
	v_fma_f64 v[37:38], v[86:87], s[12:13], -v[140:141]
	v_add_f64_e32 v[37:38], v[37:38], v[41:42]
	v_fma_f64 v[41:42], v[49:50], s[30:31], -v[144:145]
	s_delay_alu instid0(VALU_DEP_1) | instskip(SKIP_1) | instid1(VALU_DEP_1)
	v_add_f64_e32 v[37:38], v[41:42], v[37:38]
	v_fma_f64 v[41:42], v[76:77], s[30:31], v[146:147]
	v_add_f64_e32 v[39:40], v[41:42], v[39:40]
	v_fma_f64 v[41:42], v[12:13], s[18:19], -v[148:149]
	s_delay_alu instid0(VALU_DEP_1) | instskip(SKIP_1) | instid1(VALU_DEP_1)
	v_add_f64_e32 v[37:38], v[41:42], v[37:38]
	v_fma_f64 v[41:42], v[14:15], s[18:19], v[150:151]
	;; [unrolled: 5-line block ×4, first 2 shown]
	v_add_f64_e32 v[39:40], v[41:42], v[39:40]
	v_fma_f64 v[41:42], v[86:87], s[18:19], -v[160:161]
	s_delay_alu instid0(VALU_DEP_1) | instskip(SKIP_1) | instid1(VALU_DEP_2)
	v_add_f64_e32 v[41:42], v[41:42], v[43:44]
	v_fma_f64 v[43:44], v[88:89], s[18:19], v[162:163]
	v_add_f64_e32 v[41:42], v[47:48], v[41:42]
	s_delay_alu instid0(VALU_DEP_2) | instskip(SKIP_3) | instid1(VALU_DEP_3)
	v_add_f64_e32 v[43:44], v[43:44], v[58:59]
	v_fma_f64 v[47:48], v[76:77], s[20:21], v[166:167]
	v_mul_f64_e32 v[57:58], s[34:35], v[82:83]
	v_mul_f64_e32 v[82:83], s[28:29], v[82:83]
	v_add_f64_e32 v[43:44], v[47:48], v[43:44]
	v_fma_f64 v[47:48], v[12:13], s[2:3], -v[168:169]
	s_delay_alu instid0(VALU_DEP_1) | instskip(SKIP_1) | instid1(VALU_DEP_1)
	v_add_f64_e32 v[41:42], v[47:48], v[41:42]
	v_fma_f64 v[47:48], v[14:15], s[2:3], v[170:171]
	v_add_f64_e32 v[43:44], v[47:48], v[43:44]
	v_fma_f64 v[47:48], v[8:9], s[30:31], -v[172:173]
	s_delay_alu instid0(VALU_DEP_1) | instskip(SKIP_1) | instid1(VALU_DEP_1)
	v_add_f64_e32 v[41:42], v[47:48], v[41:42]
	v_fma_f64 v[47:48], v[10:11], s[30:31], v[174:175]
	v_add_f64_e32 v[43:44], v[47:48], v[43:44]
	v_fma_f64 v[47:48], v[0:1], s[14:15], -v[176:177]
	s_delay_alu instid0(VALU_DEP_1) | instskip(SKIP_1) | instid1(VALU_DEP_1)
	v_add_f64_e32 v[41:42], v[47:48], v[41:42]
	v_fma_f64 v[47:48], v[2:3], s[14:15], v[178:179]
	v_add_f64_e32 v[43:44], v[47:48], v[43:44]
	v_fma_f64 v[47:48], v[86:87], s[30:31], -v[55:56]
	v_fma_f64 v[55:56], v[86:87], s[30:31], v[55:56]
	s_delay_alu instid0(VALU_DEP_2) | instskip(SKIP_1) | instid1(VALU_DEP_3)
	v_add_f64_e32 v[45:46], v[47:48], v[45:46]
	v_fma_f64 v[47:48], v[88:89], s[30:31], v[57:58]
	v_add_f64_e32 v[51:52], v[55:56], v[51:52]
	v_fma_f64 v[55:56], v[88:89], s[30:31], -v[57:58]
	s_delay_alu instid0(VALU_DEP_3) | instskip(SKIP_1) | instid1(VALU_DEP_3)
	v_add_f64_e32 v[47:48], v[47:48], v[64:65]
	v_mul_f64_e32 v[64:65], s[22:23], v[80:81]
	v_add_f64_e32 v[53:54], v[55:56], v[53:54]
	v_mul_f64_e32 v[80:81], s[26:27], v[80:81]
	s_delay_alu instid0(VALU_DEP_3) | instskip(SKIP_2) | instid1(VALU_DEP_3)
	v_fma_f64 v[180:181], v[49:50], s[12:13], -v[64:65]
	v_fma_f64 v[55:56], v[49:50], s[12:13], v[64:65]
	v_fma_f64 v[64:65], v[49:50], s[30:31], v[144:145]
                                        ; implicit-def: $vgpr144_vgpr145
	v_add_f64_e32 v[45:46], v[180:181], v[45:46]
	v_mul_f64_e32 v[180:181], s[22:23], v[78:79]
	s_delay_alu instid0(VALU_DEP_4) | instskip(SKIP_1) | instid1(VALU_DEP_3)
	v_add_f64_e32 v[51:52], v[55:56], v[51:52]
	v_mul_f64_e32 v[78:79], s[26:27], v[78:79]
	v_fma_f64 v[182:183], v[76:77], s[12:13], v[180:181]
	v_fma_f64 v[55:56], v[76:77], s[12:13], -v[180:181]
	s_delay_alu instid0(VALU_DEP_2) | instskip(SKIP_1) | instid1(VALU_DEP_3)
	v_add_f64_e32 v[47:48], v[182:183], v[47:48]
	v_mul_f64_e32 v[182:183], s[40:41], v[22:23]
	v_add_f64_e32 v[53:54], v[55:56], v[53:54]
	v_mul_f64_e32 v[22:23], s[24:25], v[22:23]
	s_delay_alu instid0(VALU_DEP_3) | instskip(SKIP_1) | instid1(VALU_DEP_2)
	v_fma_f64 v[184:185], v[12:13], s[20:21], -v[182:183]
	v_fma_f64 v[55:56], v[12:13], s[20:21], v[182:183]
	v_add_f64_e32 v[45:46], v[184:185], v[45:46]
	v_mul_f64_e32 v[184:185], s[40:41], v[20:21]
	s_delay_alu instid0(VALU_DEP_3) | instskip(SKIP_1) | instid1(VALU_DEP_3)
	v_add_f64_e32 v[51:52], v[55:56], v[51:52]
	v_mul_f64_e32 v[20:21], s[24:25], v[20:21]
	v_fma_f64 v[186:187], v[14:15], s[20:21], v[184:185]
	v_fma_f64 v[55:56], v[14:15], s[20:21], -v[184:185]
	s_delay_alu instid0(VALU_DEP_2) | instskip(SKIP_1) | instid1(VALU_DEP_3)
	v_add_f64_e32 v[47:48], v[186:187], v[47:48]
	v_mul_f64_e32 v[186:187], s[24:25], v[18:19]
	v_add_f64_e32 v[53:54], v[55:56], v[53:54]
	v_mul_f64_e32 v[18:19], s[22:23], v[18:19]
	s_delay_alu instid0(VALU_DEP_3) | instskip(SKIP_1) | instid1(VALU_DEP_2)
	v_fma_f64 v[188:189], v[8:9], s[14:15], -v[186:187]
	v_fma_f64 v[55:56], v[8:9], s[14:15], v[186:187]
	v_add_f64_e32 v[45:46], v[188:189], v[45:46]
	v_mul_f64_e32 v[188:189], s[24:25], v[16:17]
	s_delay_alu instid0(VALU_DEP_3) | instskip(SKIP_1) | instid1(VALU_DEP_3)
	v_add_f64_e32 v[51:52], v[55:56], v[51:52]
	v_mul_f64_e32 v[16:17], s[22:23], v[16:17]
	v_fma_f64 v[190:191], v[10:11], s[14:15], v[188:189]
	v_fma_f64 v[55:56], v[10:11], s[14:15], -v[188:189]
	s_delay_alu instid0(VALU_DEP_2) | instskip(SKIP_1) | instid1(VALU_DEP_3)
	v_add_f64_e32 v[47:48], v[190:191], v[47:48]
	v_mul_f64_e32 v[190:191], s[36:37], v[6:7]
	v_add_f64_e32 v[53:54], v[55:56], v[53:54]
	s_delay_alu instid0(VALU_DEP_2) | instskip(SKIP_1) | instid1(VALU_DEP_2)
	v_fma_f64 v[192:193], v[0:1], s[18:19], -v[190:191]
	v_fma_f64 v[55:56], v[0:1], s[18:19], v[190:191]
	v_add_f64_e32 v[45:46], v[192:193], v[45:46]
	v_mul_f64_e32 v[192:193], s[36:37], v[4:5]
	s_delay_alu instid0(VALU_DEP_3) | instskip(SKIP_1) | instid1(VALU_DEP_3)
	v_add_f64_e32 v[56:57], v[55:56], v[51:52]
	v_fma_f64 v[51:52], v[86:87], s[18:19], v[160:161]
	v_fma_f64 v[58:59], v[2:3], s[18:19], -v[192:193]
	v_fma_f64 v[194:195], v[2:3], s[18:19], v[192:193]
	s_delay_alu instid0(VALU_DEP_3) | instskip(SKIP_1) | instid1(VALU_DEP_4)
	v_add_f64_e32 v[51:52], v[51:52], v[60:61]
	v_fma_f64 v[60:61], v[49:50], s[20:21], v[164:165]
	v_add_f64_e32 v[58:59], v[58:59], v[53:54]
	v_fma_f64 v[53:54], v[88:89], s[18:19], -v[162:163]
	v_add_f64_e32 v[47:48], v[194:195], v[47:48]
	s_delay_alu instid0(VALU_DEP_4) | instskip(SKIP_1) | instid1(VALU_DEP_4)
	v_add_f64_e32 v[51:52], v[60:61], v[51:52]
	v_fma_f64 v[60:61], v[76:77], s[20:21], -v[166:167]
	v_add_f64_e32 v[53:54], v[53:54], v[62:63]
	v_fma_f64 v[62:63], v[2:3], s[14:15], -v[178:179]
	s_delay_alu instid0(VALU_DEP_2) | instskip(SKIP_1) | instid1(VALU_DEP_1)
	v_add_f64_e32 v[53:54], v[60:61], v[53:54]
	v_fma_f64 v[60:61], v[12:13], s[2:3], v[168:169]
	v_add_f64_e32 v[51:52], v[60:61], v[51:52]
	v_fma_f64 v[60:61], v[14:15], s[2:3], -v[170:171]
	s_delay_alu instid0(VALU_DEP_1) | instskip(SKIP_1) | instid1(VALU_DEP_1)
	v_add_f64_e32 v[53:54], v[60:61], v[53:54]
	v_fma_f64 v[60:61], v[8:9], s[30:31], v[172:173]
	v_add_f64_e32 v[51:52], v[60:61], v[51:52]
	v_fma_f64 v[60:61], v[10:11], s[30:31], -v[174:175]
	s_delay_alu instid0(VALU_DEP_1) | instskip(SKIP_1) | instid1(VALU_DEP_2)
	v_add_f64_e32 v[53:54], v[60:61], v[53:54]
	v_fma_f64 v[60:61], v[0:1], s[14:15], v[176:177]
	v_add_f64_e32 v[62:63], v[62:63], v[53:54]
	s_delay_alu instid0(VALU_DEP_2) | instskip(SKIP_2) | instid1(VALU_DEP_2)
	v_add_f64_e32 v[60:61], v[60:61], v[51:52]
	v_fma_f64 v[51:52], v[86:87], s[12:13], v[140:141]
	v_fma_f64 v[53:54], v[88:89], s[12:13], -v[142:143]
	v_add_f64_e32 v[51:52], v[51:52], v[66:67]
	s_delay_alu instid0(VALU_DEP_2) | instskip(SKIP_2) | instid1(VALU_DEP_4)
	v_add_f64_e32 v[53:54], v[53:54], v[70:71]
	v_fma_f64 v[66:67], v[2:3], s[20:21], -v[158:159]
	v_fma_f64 v[70:71], v[2:3], s[12:13], -v[138:139]
	v_add_f64_e32 v[51:52], v[64:65], v[51:52]
	v_fma_f64 v[64:65], v[76:77], s[30:31], -v[146:147]
	s_delay_alu instid0(VALU_DEP_1) | instskip(SKIP_1) | instid1(VALU_DEP_1)
	v_add_f64_e32 v[53:54], v[64:65], v[53:54]
	v_fma_f64 v[64:65], v[12:13], s[18:19], v[148:149]
                                        ; implicit-def: $vgpr148_vgpr149
	v_add_f64_e32 v[51:52], v[64:65], v[51:52]
	v_fma_f64 v[64:65], v[14:15], s[18:19], -v[150:151]
	s_delay_alu instid0(VALU_DEP_1) | instskip(SKIP_1) | instid1(VALU_DEP_1)
	v_add_f64_e32 v[53:54], v[64:65], v[53:54]
	v_fma_f64 v[64:65], v[8:9], s[2:3], v[152:153]
	v_add_f64_e32 v[51:52], v[64:65], v[51:52]
	v_fma_f64 v[64:65], v[10:11], s[2:3], -v[154:155]
	s_delay_alu instid0(VALU_DEP_1) | instskip(SKIP_1) | instid1(VALU_DEP_2)
	v_add_f64_e32 v[53:54], v[64:65], v[53:54]
	v_fma_f64 v[64:65], v[0:1], s[20:21], v[156:157]
	v_add_f64_e32 v[66:67], v[66:67], v[53:54]
	s_delay_alu instid0(VALU_DEP_2) | instskip(SKIP_2) | instid1(VALU_DEP_2)
	v_add_f64_e32 v[64:65], v[64:65], v[51:52]
	v_fma_f64 v[51:52], v[86:87], s[2:3], v[120:121]
	v_fma_f64 v[53:54], v[88:89], s[2:3], -v[122:123]
	v_add_f64_e32 v[51:52], v[51:52], v[92:93]
	s_delay_alu instid0(VALU_DEP_2) | instskip(SKIP_2) | instid1(VALU_DEP_2)
	v_add_f64_e32 v[53:54], v[53:54], v[68:69]
	v_fma_f64 v[68:69], v[49:50], s[14:15], v[124:125]
	v_mul_f64_e32 v[92:93], s[16:17], v[4:5]
	v_add_f64_e32 v[51:52], v[68:69], v[51:52]
	v_fma_f64 v[68:69], v[76:77], s[14:15], -v[126:127]
	s_delay_alu instid0(VALU_DEP_1) | instskip(SKIP_1) | instid1(VALU_DEP_1)
	v_add_f64_e32 v[53:54], v[68:69], v[53:54]
	v_fma_f64 v[68:69], v[12:13], s[30:31], v[128:129]
	v_add_f64_e32 v[51:52], v[68:69], v[51:52]
	v_fma_f64 v[68:69], v[14:15], s[30:31], -v[130:131]
	s_delay_alu instid0(VALU_DEP_1) | instskip(SKIP_1) | instid1(VALU_DEP_1)
	v_add_f64_e32 v[53:54], v[68:69], v[53:54]
	v_fma_f64 v[68:69], v[8:9], s[20:21], v[132:133]
	v_add_f64_e32 v[51:52], v[68:69], v[51:52]
	v_fma_f64 v[68:69], v[10:11], s[20:21], -v[134:135]
	s_delay_alu instid0(VALU_DEP_1) | instskip(SKIP_1) | instid1(VALU_DEP_2)
	v_add_f64_e32 v[53:54], v[68:69], v[53:54]
	v_fma_f64 v[68:69], v[0:1], s[12:13], v[136:137]
	v_add_f64_e32 v[70:71], v[70:71], v[53:54]
	s_delay_alu instid0(VALU_DEP_2) | instskip(SKIP_3) | instid1(VALU_DEP_3)
	v_add_f64_e32 v[68:69], v[68:69], v[51:52]
	v_fma_f64 v[51:52], v[86:87], s[14:15], v[72:73]
	v_fma_f64 v[53:54], v[88:89], s[14:15], -v[94:95]
	v_fma_f64 v[72:73], v[49:50], s[2:3], v[96:97]
	v_add_f64_e32 v[51:52], v[51:52], v[74:75]
	s_delay_alu instid0(VALU_DEP_3)
	v_add_f64_e32 v[53:54], v[53:54], v[90:91]
	v_fma_f64 v[74:75], v[2:3], s[30:31], -v[118:119]
	v_fma_f64 v[90:91], v[49:50], s[18:19], -v[80:81]
	v_fma_f64 v[49:50], v[49:50], s[18:19], v[80:81]
	v_add_f64_e32 v[51:52], v[72:73], v[51:52]
	v_fma_f64 v[72:73], v[76:77], s[2:3], -v[98:99]
	s_delay_alu instid0(VALU_DEP_1) | instskip(SKIP_1) | instid1(VALU_DEP_1)
	v_add_f64_e32 v[53:54], v[72:73], v[53:54]
	v_fma_f64 v[72:73], v[12:13], s[12:13], v[108:109]
	v_add_f64_e32 v[51:52], v[72:73], v[51:52]
	v_fma_f64 v[72:73], v[14:15], s[12:13], -v[110:111]
	s_delay_alu instid0(VALU_DEP_1) | instskip(SKIP_1) | instid1(VALU_DEP_1)
	v_add_f64_e32 v[53:54], v[72:73], v[53:54]
	v_fma_f64 v[72:73], v[8:9], s[18:19], v[112:113]
	v_add_f64_e32 v[51:52], v[72:73], v[51:52]
	v_fma_f64 v[72:73], v[10:11], s[18:19], -v[114:115]
	s_delay_alu instid0(VALU_DEP_1) | instskip(SKIP_1) | instid1(VALU_DEP_2)
	v_add_f64_e32 v[53:54], v[72:73], v[53:54]
	v_fma_f64 v[72:73], v[0:1], s[30:31], v[116:117]
	v_add_f64_e32 v[74:75], v[74:75], v[53:54]
	s_delay_alu instid0(VALU_DEP_2) | instskip(SKIP_2) | instid1(VALU_DEP_2)
	v_add_f64_e32 v[72:73], v[72:73], v[51:52]
	v_mul_f64_e32 v[51:52], s[28:29], v[84:85]
	v_fma_f64 v[84:85], v[88:89], s[20:21], v[82:83]
	v_fma_f64 v[53:54], v[86:87], s[20:21], -v[51:52]
	s_delay_alu instid0(VALU_DEP_2) | instskip(SKIP_1) | instid1(VALU_DEP_3)
	v_add_f64_e32 v[84:85], v[84:85], v[102:103]
	v_fma_f64 v[51:52], v[86:87], s[20:21], v[51:52]
	v_add_f64_e32 v[53:54], v[53:54], v[100:101]
	s_delay_alu instid0(VALU_DEP_2) | instskip(NEXT) | instid1(VALU_DEP_2)
	v_add_f64_e32 v[51:52], v[51:52], v[104:105]
	v_add_f64_e32 v[53:54], v[90:91], v[53:54]
	v_fma_f64 v[90:91], v[76:77], s[18:19], v[78:79]
	v_fma_f64 v[76:77], v[76:77], s[18:19], -v[78:79]
	s_delay_alu instid0(VALU_DEP_2) | instskip(SKIP_2) | instid1(VALU_DEP_2)
	v_add_f64_e32 v[84:85], v[90:91], v[84:85]
	v_fma_f64 v[90:91], v[12:13], s[14:15], -v[22:23]
	v_fma_f64 v[12:13], v[12:13], s[14:15], v[22:23]
	v_add_f64_e32 v[53:54], v[90:91], v[53:54]
	v_fma_f64 v[90:91], v[14:15], s[14:15], v[20:21]
	v_fma_f64 v[14:15], v[14:15], s[14:15], -v[20:21]
	v_add_f64_e32 v[20:21], v[49:50], v[51:52]
	s_delay_alu instid0(VALU_DEP_3) | instskip(SKIP_2) | instid1(VALU_DEP_4)
	v_add_f64_e32 v[84:85], v[90:91], v[84:85]
	v_fma_f64 v[90:91], v[8:9], s[12:13], -v[18:19]
	v_fma_f64 v[8:9], v[8:9], s[12:13], v[18:19]
	v_add_f64_e32 v[12:13], v[12:13], v[20:21]
	s_delay_alu instid0(VALU_DEP_3) | instskip(SKIP_2) | instid1(VALU_DEP_4)
	v_add_f64_e32 v[53:54], v[90:91], v[53:54]
	v_fma_f64 v[90:91], v[10:11], s[12:13], v[16:17]
	v_fma_f64 v[10:11], v[10:11], s[12:13], -v[16:17]
	v_add_f64_e32 v[8:9], v[8:9], v[12:13]
	s_delay_alu instid0(VALU_DEP_3) | instskip(SKIP_3) | instid1(VALU_DEP_3)
	v_add_f64_e32 v[84:85], v[90:91], v[84:85]
	v_mul_f64_e32 v[90:91], s[16:17], v[6:7]
	v_fma_f64 v[6:7], v[2:3], s[2:3], v[92:93]
	v_fma_f64 v[2:3], v[2:3], s[2:3], -v[92:93]
	v_fma_f64 v[4:5], v[0:1], s[2:3], -v[90:91]
	v_fma_f64 v[0:1], v[0:1], s[2:3], v[90:91]
	s_delay_alu instid0(VALU_DEP_4) | instskip(NEXT) | instid1(VALU_DEP_3)
	v_add_f64_e32 v[6:7], v[6:7], v[84:85]
	v_add_f64_e32 v[4:5], v[4:5], v[53:54]
	v_fma_f64 v[53:54], v[88:89], s[20:21], -v[82:83]
	s_delay_alu instid0(VALU_DEP_1) | instskip(NEXT) | instid1(VALU_DEP_1)
	v_add_f64_e32 v[53:54], v[53:54], v[106:107]
	v_add_f64_e32 v[22:23], v[76:77], v[53:54]
	;; [unrolled: 1-line block ×3, first 2 shown]
	v_mul_lo_u16 v0, v24, 13
	s_delay_alu instid0(VALU_DEP_1) | instskip(NEXT) | instid1(VALU_DEP_1)
	v_and_b32_e32 v0, 0xffff, v0
	v_lshlrev_b32_e32 v240, 4, v0
	ds_store_b128 v240, v[29:32] offset:32
	ds_store_b128 v240, v[33:36] offset:48
	;; [unrolled: 1-line block ×11, first 2 shown]
	ds_store_b128 v240, v[25:28]
	v_add_f64_e32 v[14:15], v[14:15], v[22:23]
	s_delay_alu instid0(VALU_DEP_1) | instskip(NEXT) | instid1(VALU_DEP_1)
	v_add_f64_e32 v[10:11], v[10:11], v[14:15]
	v_add_f64_e32 v[54:55], v[2:3], v[10:11]
	ds_store_b128 v240, v[52:55] offset:192
	global_wb scope:SCOPE_SE
	s_wait_dscnt 0x0
	s_barrier_signal -1
	s_barrier_wait -1
	global_inv scope:SCOPE_SE
	ds_load_b128 v[108:111], v255
	ds_load_b128 v[100:103], v255 offset:1872
	ds_load_b128 v[136:139], v255 offset:8112
	;; [unrolled: 1-line block ×11, first 2 shown]
	s_and_saveexec_b32 s2, vcc_lo
	s_cbranch_execz .LBB0_3
; %bb.2:
	ds_load_b128 v[52:55], v255 offset:7488
	ds_load_b128 v[144:147], v255 offset:15600
	;; [unrolled: 1-line block ×3, first 2 shown]
.LBB0_3:
	s_wait_alu 0xfffe
	s_or_b32 exec_lo, exec_lo, s2
	v_add_nc_u16 v0, v196, 0x75
	v_add_co_u32 v1, null, 0xea, v196
	v_and_b32_e32 v3, 0xff, v196
	v_add_co_u32 v2, null, 0x15f, v196
	s_delay_alu instid0(VALU_DEP_4) | instskip(NEXT) | instid1(VALU_DEP_4)
	v_and_b32_e32 v8, 0xff, v0
	v_and_b32_e32 v7, 0xffff, v1
	s_delay_alu instid0(VALU_DEP_4)
	v_mul_lo_u16 v4, 0x4f, v3
	v_add_nc_u16 v3, v196, 0x1d4
	v_and_b32_e32 v9, 0xffff, v2
	v_mul_lo_u16 v5, 0x4f, v8
	v_mul_u32_u24_e32 v10, 0x4ec5, v7
	v_lshrrev_b16 v64, 10, v4
	v_and_b32_e32 v6, 0xffff, v3
	v_mul_u32_u24_e32 v4, 0x4ec5, v9
	v_lshrrev_b16 v65, 10, v5
	v_lshrrev_b32_e32 v66, 18, v10
	v_mul_lo_u16 v5, v64, 13
	v_mul_u32_u24_e32 v10, 0x4ec5, v6
	v_lshrrev_b32_e32 v67, 18, v4
	v_mul_lo_u16 v11, v65, 13
	v_mul_lo_u16 v4, v66, 13
	v_sub_nc_u16 v5, v196, v5
	v_lshrrev_b32_e32 v12, 18, v10
	s_mov_b32 s2, 0xe8584caa
	v_sub_nc_u16 v10, v0, v11
	v_mul_lo_u16 v11, v67, 13
	v_sub_nc_u16 v68, v1, v4
	v_and_b32_e32 v69, 0xff, v5
	v_mul_lo_u16 v4, v12, 13
	scratch_store_b32 off, v12, off offset:220 ; 4-byte Folded Spill
	v_sub_nc_u16 v71, v2, v11
	v_and_b32_e32 v70, 0xff, v10
	v_lshlrev_b32_e32 v10, 5, v69
	v_sub_nc_u16 v12, v3, v4
	v_lshlrev_b16 v5, 1, v68
	v_lshlrev_b16 v11, 1, v71
	v_lshlrev_b32_e32 v4, 5, v70
	s_clause 0x1
	global_load_b128 v[88:91], v10, s[10:11] offset:16
	global_load_b128 v[96:99], v10, s[10:11]
	v_lshlrev_b16 v10, 1, v12
	v_and_b32_e32 v5, 0xffff, v5
	v_and_b32_e32 v11, 0xffff, v11
	scratch_store_b32 off, v12, off offset:224 ; 4-byte Folded Spill
	s_clause 0x1
	global_load_b128 v[92:95], v4, s[10:11]
	global_load_b128 v[84:87], v4, s[10:11] offset:16
	v_and_b32_e32 v4, 0xffff, v10
	v_lshlrev_b32_e32 v5, 4, v5
	v_lshlrev_b32_e32 v10, 4, v11
	s_clause 0x1
	global_load_b128 v[80:83], v5, s[10:11]
	global_load_b128 v[76:79], v5, s[10:11] offset:16
	v_lshlrev_b32_e32 v4, 4, v4
	s_clause 0x3
	global_load_b128 v[152:155], v10, s[10:11]
	global_load_b128 v[60:63], v10, s[10:11] offset:16
	global_load_b128 v[72:75], v4, s[10:11]
	global_load_b128 v[48:51], v4, s[10:11] offset:16
	s_mov_b32 s3, 0x3febb67a
	s_mov_b32 s13, 0xbfebb67a
	s_wait_alu 0xfffe
	s_mov_b32 s12, s2
	s_wait_loadcnt_dscnt 0x907
	v_mul_f64_e32 v[10:11], v[142:143], v[90:91]
	s_wait_loadcnt 0x8
	v_mul_f64_e32 v[4:5], v[138:139], v[98:99]
	v_mul_f64_e32 v[12:13], v[136:137], v[98:99]
	;; [unrolled: 1-line block ×3, first 2 shown]
	s_wait_loadcnt 0x7
	v_mul_f64_e32 v[16:17], v[122:123], v[94:95]
	s_wait_loadcnt_dscnt 0x606
	v_mul_f64_e32 v[18:19], v[126:127], v[86:87]
	v_mul_f64_e32 v[20:21], v[120:121], v[94:95]
	v_mul_f64_e32 v[22:23], v[124:125], v[86:87]
	s_wait_loadcnt_dscnt 0x503
	v_mul_f64_e32 v[24:25], v[130:131], v[82:83]
	s_wait_loadcnt_dscnt 0x401
	v_mul_f64_e32 v[26:27], v[134:135], v[78:79]
	v_mul_f64_e32 v[28:29], v[128:129], v[82:83]
	;; [unrolled: 1-line block ×3, first 2 shown]
	s_wait_loadcnt 0x3
	v_mul_f64_e32 v[32:33], v[114:115], v[154:155]
	s_wait_loadcnt_dscnt 0x200
	v_mul_f64_e32 v[34:35], v[118:119], v[62:63]
	v_mul_f64_e32 v[36:37], v[112:113], v[154:155]
	v_mul_f64_e32 v[38:39], v[116:117], v[62:63]
	s_wait_loadcnt 0x1
	v_mul_f64_e32 v[40:41], v[146:147], v[74:75]
	s_wait_loadcnt 0x0
	v_mul_f64_e32 v[42:43], v[150:151], v[50:51]
	v_mul_f64_e32 v[44:45], v[144:145], v[74:75]
	;; [unrolled: 1-line block ×3, first 2 shown]
	s_clause 0x3
	scratch_store_b128 off, v[60:63], off offset:248
	scratch_store_b128 off, v[48:51], off offset:232
	;; [unrolled: 1-line block ×4, first 2 shown]
	global_wb scope:SCOPE_SE
	s_wait_storecnt 0x0
	s_barrier_signal -1
	s_barrier_wait -1
	global_inv scope:SCOPE_SE
	v_fma_f64 v[10:11], v[140:141], v[88:89], -v[10:11]
	v_fma_f64 v[4:5], v[136:137], v[96:97], -v[4:5]
	v_fma_f64 v[12:13], v[138:139], v[96:97], v[12:13]
	v_fma_f64 v[14:15], v[142:143], v[88:89], v[14:15]
	v_fma_f64 v[16:17], v[120:121], v[92:93], -v[16:17]
	v_fma_f64 v[18:19], v[124:125], v[84:85], -v[18:19]
	v_fma_f64 v[20:21], v[122:123], v[92:93], v[20:21]
	v_fma_f64 v[22:23], v[126:127], v[84:85], v[22:23]
	;; [unrolled: 4-line block ×5, first 2 shown]
	v_add_f64_e32 v[48:49], v[4:5], v[10:11]
	v_add_f64_e32 v[124:125], v[108:109], v[4:5]
	;; [unrolled: 1-line block ×3, first 2 shown]
	v_add_f64_e64 v[126:127], v[12:13], -v[14:15]
	v_add_f64_e32 v[12:13], v[110:111], v[12:13]
	v_add_f64_e32 v[60:61], v[16:17], v[18:19]
	;; [unrolled: 1-line block ×4, first 2 shown]
	v_add_f64_e64 v[4:5], v[4:5], -v[10:11]
	v_add_f64_e32 v[130:131], v[102:103], v[20:21]
	v_add_f64_e32 v[132:133], v[104:105], v[24:25]
	;; [unrolled: 1-line block ×13, first 2 shown]
	v_add_f64_e64 v[144:145], v[28:29], -v[30:31]
	v_add_f64_e64 v[146:147], v[40:41], -v[42:43]
	v_fma_f64 v[48:49], v[48:49], -0.5, v[108:109]
	v_add_f64_e64 v[108:109], v[20:21], -v[22:23]
	v_fma_f64 v[50:51], v[50:51], -0.5, v[110:111]
	v_add_f64_e64 v[110:111], v[16:17], -v[18:19]
	v_add_f64_e32 v[10:11], v[124:125], v[10:11]
	v_fma_f64 v[60:61], v[60:61], -0.5, v[100:101]
	v_add_f64_e32 v[12:13], v[12:13], v[14:15]
	v_fma_f64 v[62:63], v[62:63], -0.5, v[102:103]
	v_add_f64_e32 v[14:15], v[128:129], v[18:19]
	v_add_f64_e32 v[16:17], v[130:131], v[22:23]
	;; [unrolled: 1-line block ×3, first 2 shown]
	v_fma_f64 v[104:105], v[112:113], -0.5, v[104:105]
	v_add_f64_e64 v[112:113], v[24:25], -v[26:27]
	v_fma_f64 v[106:107], v[114:115], -0.5, v[106:107]
	v_add_f64_e64 v[114:115], v[36:37], -v[38:39]
	;; [unrolled: 2-line block ×4, first 2 shown]
	v_fma_f64 v[120:121], v[120:121], -0.5, v[52:53]
	v_add_f64_e32 v[20:21], v[134:135], v[30:31]
	v_fma_f64 v[122:123], v[122:123], -0.5, v[54:55]
	v_add_f64_e32 v[24:25], v[138:139], v[38:39]
	v_add_f64_e32 v[100:101], v[140:141], v[42:43]
	;; [unrolled: 1-line block ×4, first 2 shown]
	v_fma_f64 v[26:27], v[126:127], s[2:3], v[48:49]
	s_wait_alu 0xfffe
	v_fma_f64 v[30:31], v[126:127], s[12:13], v[48:49]
	v_fma_f64 v[28:29], v[4:5], s[12:13], v[50:51]
	;; [unrolled: 1-line block ×3, first 2 shown]
	v_and_b32_e32 v4, 0xffff, v64
	v_fma_f64 v[38:39], v[108:109], s[12:13], v[60:61]
	v_fma_f64 v[34:35], v[108:109], s[2:3], v[60:61]
	;; [unrolled: 1-line block ×4, first 2 shown]
	v_and_b32_e32 v5, 0xffff, v65
	v_mul_u32_u24_e32 v4, 39, v4
	v_fma_f64 v[46:47], v[144:145], s[12:13], v[104:105]
	v_fma_f64 v[42:43], v[144:145], s[2:3], v[104:105]
	;; [unrolled: 1-line block ×12, first 2 shown]
	v_mad_u16 v58, v66, 39, v68
	v_mad_u16 v59, v67, 39, v71
	v_mul_u32_u24_e32 v5, 39, v5
	v_add_lshl_u32 v61, v4, v69, 4
	ds_store_b128 v61, v[10:13]
	ds_store_b128 v61, v[26:29] offset:208
	v_and_b32_e32 v58, 0xffff, v58
	v_and_b32_e32 v59, 0xffff, v59
	v_add_lshl_u32 v60, v5, v70, 4
	scratch_store_b32 off, v61, off offset:304 ; 4-byte Folded Spill
	ds_store_b128 v61, v[30:33] offset:416
	ds_store_b128 v60, v[14:17]
	ds_store_b128 v60, v[34:37] offset:208
	v_lshlrev_b32_e32 v5, 4, v58
	v_lshlrev_b32_e32 v4, 4, v59
	scratch_store_b32 off, v60, off offset:300 ; 4-byte Folded Spill
	ds_store_b128 v60, v[38:41] offset:416
	ds_store_b128 v5, v[18:21]
	ds_store_b128 v5, v[42:45] offset:208
	scratch_store_b32 off, v5, off offset:280 ; 4-byte Folded Spill
	ds_store_b128 v5, v[46:49] offset:416
	ds_store_b128 v4, v[22:25]
	ds_store_b128 v4, v[50:53] offset:208
	scratch_store_b32 off, v4, off offset:228 ; 4-byte Folded Spill
	ds_store_b128 v4, v[54:57] offset:416
	s_and_saveexec_b32 s2, vcc_lo
	s_cbranch_execz .LBB0_5
; %bb.4:
	s_clause 0x1
	scratch_load_b32 v4, off, off offset:220
	scratch_load_b32 v5, off, off offset:224
	s_wait_loadcnt 0x0
	v_mad_u16 v4, v4, 39, v5
	s_delay_alu instid0(VALU_DEP_1) | instskip(NEXT) | instid1(VALU_DEP_1)
	v_and_b32_e32 v4, 0xffff, v4
	v_lshlrev_b32_e32 v4, 4, v4
	ds_store_b128 v4, v[100:103]
	ds_store_b128 v4, v[148:151] offset:208
	ds_store_b128 v4, v[156:159] offset:416
.LBB0_5:
	s_wait_alu 0xfffe
	s_or_b32 exec_lo, exec_lo, s2
	global_wb scope:SCOPE_SE
	s_wait_storecnt_dscnt 0x0
	s_barrier_signal -1
	s_barrier_wait -1
	global_inv scope:SCOPE_SE
	ds_load_b128 v[104:107], v255
	ds_load_b128 v[108:111], v255 offset:1872
	ds_load_b128 v[164:167], v255 offset:8112
	;; [unrolled: 1-line block ×11, first 2 shown]
	v_add_co_u32 v4, s2, s8, v255
	s_wait_alu 0xf1ff
	v_add_co_ci_u32_e64 v5, null, s9, 0, s2
	scratch_store_b64 off, v[4:5], off offset:328 ; 8-byte Folded Spill
	s_and_saveexec_b32 s2, vcc_lo
	s_cbranch_execz .LBB0_7
; %bb.6:
	ds_load_b128 v[100:103], v255 offset:7488
	ds_load_b128 v[148:151], v255 offset:15600
	;; [unrolled: 1-line block ×3, first 2 shown]
.LBB0_7:
	s_wait_alu 0xfffe
	s_or_b32 exec_lo, exec_lo, s2
	v_mul_lo_u16 v5, 0xa5, v8
	v_mul_u32_u24_e32 v7, 0xa41b, v7
	v_and_b32_e32 v4, 0xff, v196
	v_mul_u32_u24_e32 v8, 0xa41b, v9
	v_mul_u32_u24_e32 v6, 0xa41b, v6
	v_lshrrev_b16 v5, 8, v5
	v_lshrrev_b32_e32 v7, 16, v7
	v_mul_lo_u16 v4, 0xa5, v4
	v_lshrrev_b32_e32 v8, 16, v8
	v_lshrrev_b32_e32 v6, 16, v6
	v_sub_nc_u16 v9, v0, v5
	v_sub_nc_u16 v10, v1, v7
	v_lshrrev_b16 v4, 8, v4
	v_sub_nc_u16 v11, v2, v8
	v_sub_nc_u16 v13, v3, v6
	v_lshrrev_b16 v9, 1, v9
	v_lshrrev_b16 v10, 1, v10
	v_sub_nc_u16 v12, v196, v4
	v_lshrrev_b16 v11, 1, v11
	s_delay_alu instid0(VALU_DEP_4) | instskip(NEXT) | instid1(VALU_DEP_4)
	v_and_b32_e32 v9, 0x7f, v9
	v_add_nc_u16 v7, v10, v7
	s_delay_alu instid0(VALU_DEP_4) | instskip(NEXT) | instid1(VALU_DEP_4)
	v_lshrrev_b16 v12, 1, v12
	v_add_nc_u16 v8, v11, v8
	s_delay_alu instid0(VALU_DEP_4)
	v_add_nc_u16 v5, v9, v5
	v_lshrrev_b16 v9, 1, v13
	v_lshrrev_b16 v64, 5, v7
	v_and_b32_e32 v10, 0x7f, v12
	v_lshrrev_b16 v65, 5, v8
	v_lshrrev_b16 v5, 5, v5
	v_add_nc_u16 v6, v9, v6
	v_mul_lo_u16 v7, v64, 39
	v_add_nc_u16 v4, v10, v4
	v_mul_lo_u16 v8, v65, 39
	v_and_b32_e32 v5, 7, v5
	v_lshrrev_b16 v6, 5, v6
	v_sub_nc_u16 v66, v1, v7
	v_lshrrev_b16 v4, 5, v4
	v_sub_nc_u16 v67, v2, v8
	v_mul_lo_u16 v1, v5, 39
	v_mul_lo_u16 v2, v6, 39
	v_lshlrev_b16 v6, 5, v66
	v_and_b32_e32 v4, 7, v4
	v_lshlrev_b16 v7, 5, v67
	v_sub_nc_u16 v0, v0, v1
	v_sub_nc_u16 v68, v3, v2
	v_and_b32_e32 v1, 0xffff, v6
	v_mul_lo_u16 v8, v4, 39
	v_and_b32_e32 v2, 0xffff, v7
	v_and_b32_e32 v69, 0xff, v0
	;; [unrolled: 1-line block ×3, first 2 shown]
	v_add_co_u32 v0, s2, s10, v1
	s_wait_alu 0xf1ff
	v_add_co_ci_u32_e64 v1, null, s11, 0, s2
	v_sub_nc_u16 v3, v196, v8
	s_clause 0x1
	global_load_b128 v[116:119], v[0:1], off offset:432
	global_load_b128 v[124:127], v[0:1], off offset:416
	v_lshlrev_b16 v0, 5, v68
	v_and_b32_e32 v70, 0xff, v3
	v_add_co_u32 v2, s2, s10, v2
	v_lshlrev_b32_e32 v6, 5, v69
	s_delay_alu instid0(VALU_DEP_4)
	v_and_b32_e32 v0, 0xffff, v0
	s_wait_alu 0xf1ff
	v_add_co_ci_u32_e64 v3, null, s11, 0, s2
	v_lshlrev_b32_e32 v1, 5, v70
	s_clause 0x2
	global_load_b128 v[120:123], v[2:3], off offset:432
	global_load_b128 v[128:131], v[2:3], off offset:416
	global_load_b128 v[132:135], v6, s[10:11] offset:416
	v_add_co_u32 v0, s2, s10, v0
	s_clause 0x2
	global_load_b128 v[136:139], v6, s[10:11] offset:432
	global_load_b128 v[144:147], v1, s[10:11] offset:416
	;; [unrolled: 1-line block ×3, first 2 shown]
	s_wait_alu 0xf1ff
	v_add_co_ci_u32_e64 v1, null, s11, 0, s2
	s_clause 0x1
	global_load_b128 v[60:63], v[0:1], off offset:416
	global_load_b128 v[56:59], v[0:1], off offset:432
	s_mov_b32 s2, 0xe8584caa
	s_mov_b32 s3, 0x3febb67a
	s_wait_alu 0xfffe
	s_mov_b32 s12, s2
	v_and_b32_e32 v4, 0xffff, v4
	v_mul_u32_u24_e32 v5, 0x75, v5
	s_delay_alu instid0(VALU_DEP_2) | instskip(NEXT) | instid1(VALU_DEP_2)
	v_mul_u32_u24_e32 v4, 0x75, v4
	v_add_lshl_u32 v5, v5, v69, 4
	s_delay_alu instid0(VALU_DEP_2)
	v_add_lshl_u32 v4, v4, v70, 4
	s_wait_loadcnt_dscnt 0x901
	v_mul_f64_e32 v[6:7], v[190:191], v[118:119]
	v_mul_f64_e32 v[8:9], v[188:189], v[118:119]
	s_wait_loadcnt 0x8
	v_mul_f64_e32 v[0:1], v[186:187], v[126:127]
	v_mul_f64_e32 v[2:3], v[184:185], v[126:127]
	s_wait_loadcnt_dscnt 0x700
	v_mul_f64_e32 v[12:13], v[182:183], v[122:123]
	s_wait_loadcnt 0x6
	v_mul_f64_e32 v[10:11], v[178:179], v[130:131]
	s_wait_loadcnt 0x5
	;; [unrolled: 2-line block ×5, first 2 shown]
	v_mul_f64_e32 v[20:21], v[174:175], v[142:143]
	v_mul_f64_e32 v[22:23], v[164:165], v[146:147]
	;; [unrolled: 1-line block ×5, first 2 shown]
	s_wait_loadcnt 0x1
	v_mul_f64_e32 v[38:39], v[148:149], v[62:63]
	s_wait_loadcnt 0x0
	v_mul_f64_e32 v[40:41], v[156:157], v[58:59]
	v_mul_f64_e32 v[34:35], v[150:151], v[62:63]
	;; [unrolled: 1-line block ×5, first 2 shown]
	scratch_store_b128 off, v[60:63], off offset:416 ; 16-byte Folded Spill
	v_fma_f64 v[46:47], v[188:189], v[116:117], -v[6:7]
	v_fma_f64 v[48:49], v[190:191], v[116:117], v[8:9]
	v_fma_f64 v[42:43], v[184:185], v[124:125], -v[0:1]
	v_fma_f64 v[44:45], v[186:187], v[124:125], v[2:3]
	v_fma_f64 v[50:51], v[180:181], v[120:121], -v[12:13]
	v_fma_f64 v[10:11], v[176:177], v[128:129], -v[10:11]
	v_fma_f64 v[12:13], v[160:161], v[132:133], -v[14:15]
	v_fma_f64 v[52:53], v[168:169], v[136:137], -v[16:17]
	v_fma_f64 v[14:15], v[164:165], v[144:145], -v[18:19]
	v_fma_f64 v[54:55], v[172:173], v[140:141], -v[20:21]
	v_fma_f64 v[16:17], v[166:167], v[144:145], v[22:23]
	v_fma_f64 v[24:25], v[174:175], v[140:141], v[24:25]
	;; [unrolled: 1-line block ×6, first 2 shown]
	v_fma_f64 v[2:3], v[148:149], v[60:61], -v[34:35]
	v_fma_f64 v[0:1], v[156:157], v[56:57], -v[36:37]
	v_fma_f64 v[22:23], v[178:179], v[128:129], v[30:31]
	v_fma_f64 v[26:27], v[182:183], v[120:121], v[32:33]
	v_add_f64_e32 v[28:29], v[42:43], v[46:47]
	v_add_f64_e32 v[30:31], v[44:45], v[48:49]
	;; [unrolled: 1-line block ×3, first 2 shown]
	v_add_f64_e64 v[148:149], v[44:45], -v[48:49]
	v_add_f64_e32 v[44:45], v[154:155], v[44:45]
	v_add_f64_e64 v[42:43], v[42:43], -v[46:47]
	v_add_f64_e32 v[32:33], v[10:11], v[50:51]
	v_add_f64_e32 v[150:151], v[112:113], v[10:11]
	;; [unrolled: 1-line block ×11, first 2 shown]
	v_add_f64_e64 v[166:167], v[16:17], -v[24:25]
	v_add_f64_e64 v[172:173], v[2:3], -v[0:1]
	;; [unrolled: 1-line block ×5, first 2 shown]
	v_fma_f64 v[28:29], v[28:29], -0.5, v[152:153]
	v_add_f64_e64 v[152:153], v[18:19], -v[20:21]
	v_fma_f64 v[154:155], v[30:31], -0.5, v[154:155]
	v_add_f64_e32 v[10:11], v[62:63], v[46:47]
	v_add_f64_e32 v[12:13], v[44:45], v[48:49]
	v_fma_f64 v[112:113], v[32:33], -0.5, v[112:113]
	v_fma_f64 v[108:109], v[34:35], -0.5, v[108:109]
	v_add_f64_e32 v[18:19], v[158:159], v[52:53]
	v_fma_f64 v[36:37], v[36:37], -0.5, v[104:105]
	v_add_f64_e64 v[104:105], v[14:15], -v[54:55]
	v_fma_f64 v[106:107], v[38:39], -0.5, v[106:107]
	v_add_f64_e32 v[14:15], v[150:151], v[50:51]
	v_fma_f64 v[110:111], v[40:41], -0.5, v[110:111]
	v_add_f64_e32 v[24:25], v[164:165], v[24:25]
	;; [unrolled: 2-line block ×3, first 2 shown]
	s_wait_alu 0xfffe
	v_fma_f64 v[30:31], v[148:149], s[12:13], v[28:29]
	v_fma_f64 v[32:33], v[42:43], s[2:3], v[154:155]
	;; [unrolled: 1-line block ×12, first 2 shown]
	v_and_b32_e32 v60, 0xffff, v68
	scratch_store_b128 off, v[56:59], off offset:400 ; 16-byte Folded Spill
	v_add_f64_e32 v[56:57], v[22:23], v[26:27]
	v_add_f64_e32 v[58:59], v[2:3], v[0:1]
	;; [unrolled: 1-line block ×3, first 2 shown]
	scratch_store_b32 off, v60, off offset:308 ; 4-byte Folded Spill
	global_wb scope:SCOPE_SE
	s_wait_storecnt 0x0
	s_barrier_signal -1
	s_barrier_wait -1
	global_inv scope:SCOPE_SE
	v_fma_f64 v[56:57], v[56:57], -0.5, v[114:115]
	v_add_f64_e64 v[114:115], v[8:9], -v[6:7]
	v_fma_f64 v[58:59], v[58:59], -0.5, v[100:101]
	v_add_f64_e32 v[16:17], v[22:23], v[26:27]
	v_add_f64_e32 v[22:23], v[162:163], v[54:55]
	v_fma_f64 v[26:27], v[148:149], s[2:3], v[28:29]
	v_fma_f64 v[28:29], v[42:43], s[12:13], v[154:155]
	;; [unrolled: 1-line block ×4, first 2 shown]
	ds_store_b128 v4, v[22:25]
	ds_store_b128 v4, v[42:45] offset:624
	v_fma_f64 v[36:37], v[170:171], s[12:13], v[56:57]
	v_fma_f64 v[56:57], v[170:171], s[2:3], v[56:57]
	;; [unrolled: 1-line block ×4, first 2 shown]
	v_mad_u16 v58, 0x75, v64, v66
	v_mad_u16 v59, 0x75, v65, v67
	scratch_store_b32 off, v4, off offset:324 ; 4-byte Folded Spill
	ds_store_b128 v4, v[46:49] offset:1248
	ds_store_b128 v5, v[18:21]
	ds_store_b128 v5, v[38:41] offset:624
	scratch_store_b32 off, v5, off offset:320 ; 4-byte Folded Spill
	v_and_b32_e32 v58, 0xffff, v58
	v_and_b32_e32 v59, 0xffff, v59
	s_delay_alu instid0(VALU_DEP_2) | instskip(NEXT) | instid1(VALU_DEP_2)
	v_lshlrev_b32_e32 v60, 4, v58
	v_lshlrev_b32_e32 v58, 4, v59
	ds_store_b128 v5, v[50:53] offset:1248
	ds_store_b128 v60, v[10:13]
	ds_store_b128 v60, v[26:29] offset:624
	scratch_store_b32 off, v60, off offset:316 ; 4-byte Folded Spill
	ds_store_b128 v60, v[30:33] offset:1248
	ds_store_b128 v58, v[14:17]
	ds_store_b128 v58, v[34:37] offset:624
	scratch_store_b32 off, v58, off offset:312 ; 4-byte Folded Spill
	ds_store_b128 v58, v[54:57] offset:1248
	s_and_saveexec_b32 s2, vcc_lo
	s_cbranch_execz .LBB0_9
; %bb.8:
	scratch_load_b32 v4, off, off offset:308 ; 4-byte Folded Reload
	v_add_f64_e32 v[8:9], v[102:103], v[8:9]
	v_add_f64_e32 v[10:11], v[100:101], v[2:3]
	s_delay_alu instid0(VALU_DEP_2) | instskip(NEXT) | instid1(VALU_DEP_2)
	v_add_f64_e32 v[2:3], v[8:9], v[6:7]
	v_add_f64_e32 v[0:1], v[10:11], v[0:1]
	s_wait_loadcnt 0x0
	v_lshlrev_b32_e32 v4, 4, v4
	ds_store_b128 v4, v[0:3] offset:22464
	ds_store_b128 v4, v[180:183] offset:23088
	;; [unrolled: 1-line block ×3, first 2 shown]
.LBB0_9:
	s_wait_alu 0xfffe
	s_or_b32 exec_lo, exec_lo, s2
	v_mad_co_u64_u32 v[0:1], null, 0xc0, v196, s[10:11]
	scratch_store_b32 off, v196, off offset:56 ; 4-byte Folded Spill
	global_wb scope:SCOPE_SE
	s_wait_storecnt_dscnt 0x0
	s_barrier_signal -1
	s_barrier_wait -1
	global_inv scope:SCOPE_SE
	s_mov_b32 s10, 0x24c2f84
	s_clause 0x3
	global_load_b128 v[112:115], v[0:1], off offset:1664
	global_load_b128 v[104:107], v[0:1], off offset:1680
	;; [unrolled: 1-line block ×4, first 2 shown]
	ds_load_b128 v[148:151], v255 offset:1872
	ds_load_b128 v[6:9], v255
	ds_load_b128 v[10:13], v255 offset:3744
	ds_load_b128 v[14:17], v255 offset:5616
	s_mov_b32 s11, 0xbfe5384d
	s_mov_b32 s30, 0x4267c47c
	;; [unrolled: 1-line block ×24, first 2 shown]
	s_wait_alu 0xfffe
	s_mov_b32 s38, s10
	s_mov_b32 s35, 0x3fefc445
	;; [unrolled: 1-line block ×11, first 2 shown]
	s_add_nc_u64 s[8:9], s[8:9], 0x5f10
	s_wait_loadcnt_dscnt 0x303
	v_mul_f64_e32 v[2:3], v[150:151], v[114:115]
	v_mul_f64_e32 v[18:19], v[148:149], v[114:115]
	s_wait_loadcnt_dscnt 0x201
	v_mul_f64_e32 v[22:23], v[10:11], v[106:107]
	s_delay_alu instid0(VALU_DEP_3) | instskip(SKIP_1) | instid1(VALU_DEP_4)
	v_fma_f64 v[20:21], v[148:149], v[112:113], -v[2:3]
	v_mul_f64_e32 v[2:3], v[12:13], v[106:107]
	v_fma_f64 v[18:19], v[150:151], v[112:113], v[18:19]
	s_delay_alu instid0(VALU_DEP_4) | instskip(NEXT) | instid1(VALU_DEP_4)
	v_fma_f64 v[200:201], v[12:13], v[104:105], v[22:23]
	v_add_f64_e32 v[4:5], v[6:7], v[20:21]
	s_delay_alu instid0(VALU_DEP_4) | instskip(SKIP_3) | instid1(VALU_DEP_2)
	v_fma_f64 v[198:199], v[10:11], v[104:105], -v[2:3]
	s_wait_loadcnt_dscnt 0x100
	v_mul_f64_e32 v[2:3], v[16:17], v[102:103]
	v_mul_f64_e32 v[10:11], v[14:15], v[102:103]
	v_fma_f64 v[202:203], v[14:15], v[100:101], -v[2:3]
	s_delay_alu instid0(VALU_DEP_2)
	v_fma_f64 v[204:205], v[16:17], v[100:101], v[10:11]
	ds_load_b128 v[10:13], v255 offset:7488
	ds_load_b128 v[14:17], v255 offset:9360
	s_clause 0x1
	global_load_b128 v[152:155], v[0:1], off offset:1728
	global_load_b128 v[148:151], v[0:1], off offset:1744
	s_wait_loadcnt_dscnt 0x201
	v_mul_f64_e32 v[2:3], v[12:13], v[110:111]
	s_delay_alu instid0(VALU_DEP_1) | instskip(SKIP_1) | instid1(VALU_DEP_1)
	v_fma_f64 v[206:207], v[10:11], v[108:109], -v[2:3]
	v_mul_f64_e32 v[2:3], v[10:11], v[110:111]
	v_fma_f64 v[208:209], v[12:13], v[108:109], v[2:3]
	s_wait_loadcnt_dscnt 0x100
	v_mul_f64_e32 v[2:3], v[16:17], v[154:155]
	s_delay_alu instid0(VALU_DEP_1) | instskip(SKIP_1) | instid1(VALU_DEP_1)
	v_fma_f64 v[210:211], v[14:15], v[152:153], -v[2:3]
	v_mul_f64_e32 v[2:3], v[14:15], v[154:155]
	v_fma_f64 v[212:213], v[16:17], v[152:153], v[2:3]
	ds_load_b128 v[10:13], v255 offset:11232
	ds_load_b128 v[14:17], v255 offset:13104
	s_clause 0x1
	global_load_b128 v[160:163], v[0:1], off offset:1760
	global_load_b128 v[156:159], v[0:1], off offset:1776
	s_wait_loadcnt_dscnt 0x201
	v_mul_f64_e32 v[2:3], v[12:13], v[150:151]
	s_delay_alu instid0(VALU_DEP_1) | instskip(SKIP_1) | instid1(VALU_DEP_1)
	v_fma_f64 v[214:215], v[10:11], v[148:149], -v[2:3]
	v_mul_f64_e32 v[2:3], v[10:11], v[150:151]
	v_fma_f64 v[216:217], v[12:13], v[148:149], v[2:3]
	s_wait_loadcnt_dscnt 0x100
	v_mul_f64_e32 v[2:3], v[16:17], v[162:163]
	s_delay_alu instid0(VALU_DEP_1) | instskip(SKIP_1) | instid1(VALU_DEP_2)
	v_fma_f64 v[218:219], v[14:15], v[160:161], -v[2:3]
	v_mul_f64_e32 v[2:3], v[14:15], v[162:163]
	v_add_f64_e32 v[66:67], v[214:215], v[218:219]
	s_delay_alu instid0(VALU_DEP_2)
	v_fma_f64 v[220:221], v[16:17], v[160:161], v[2:3]
	ds_load_b128 v[10:13], v255 offset:14976
	ds_load_b128 v[14:17], v255 offset:16848
	s_clause 0x1
	global_load_b128 v[164:167], v[0:1], off offset:1792
	global_load_b128 v[168:171], v[0:1], off offset:1808
	s_wait_loadcnt_dscnt 0x201
	v_mul_f64_e32 v[2:3], v[12:13], v[158:159]
	v_add_f64_e64 v[64:65], v[216:217], -v[220:221]
	v_add_f64_e32 v[72:73], v[216:217], v[220:221]
	s_delay_alu instid0(VALU_DEP_3) | instskip(SKIP_1) | instid1(VALU_DEP_4)
	v_fma_f64 v[222:223], v[10:11], v[156:157], -v[2:3]
	v_mul_f64_e32 v[2:3], v[10:11], v[158:159]
	v_mul_f64_e32 v[68:69], s[2:3], v[64:65]
	s_delay_alu instid0(VALU_DEP_3) | instskip(NEXT) | instid1(VALU_DEP_3)
	v_add_f64_e64 v[249:250], v[210:211], -v[222:223]
	v_fma_f64 v[224:225], v[12:13], v[156:157], v[2:3]
	s_delay_alu instid0(VALU_DEP_3) | instskip(NEXT) | instid1(VALU_DEP_2)
	v_fma_f64 v[70:71], v[66:67], s[12:13], -v[68:69]
	v_add_f64_e64 v[243:244], v[212:213], -v[224:225]
	s_wait_loadcnt_dscnt 0x100
	v_mul_f64_e32 v[2:3], v[16:17], v[166:167]
	s_delay_alu instid0(VALU_DEP_1) | instskip(SKIP_1) | instid1(VALU_DEP_1)
	v_fma_f64 v[226:227], v[14:15], v[164:165], -v[2:3]
	v_mul_f64_e32 v[2:3], v[14:15], v[166:167]
	v_fma_f64 v[228:229], v[16:17], v[164:165], v[2:3]
	ds_load_b128 v[10:13], v255 offset:18720
	ds_load_b128 v[14:17], v255 offset:20592
	s_clause 0x1
	global_load_b128 v[172:175], v[0:1], off offset:1824
	global_load_b128 v[176:179], v[0:1], off offset:1840
	s_wait_loadcnt_dscnt 0x201
	v_mul_f64_e32 v[2:3], v[12:13], v[170:171]
	s_delay_alu instid0(VALU_DEP_1) | instskip(SKIP_1) | instid1(VALU_DEP_1)
	v_fma_f64 v[230:231], v[10:11], v[168:169], -v[2:3]
	v_mul_f64_e32 v[2:3], v[10:11], v[170:171]
	v_fma_f64 v[232:233], v[12:13], v[168:169], v[2:3]
	s_wait_loadcnt_dscnt 0x100
	v_mul_f64_e32 v[0:1], v[16:17], v[174:175]
	s_delay_alu instid0(VALU_DEP_1) | instskip(SKIP_1) | instid1(VALU_DEP_2)
	v_fma_f64 v[234:235], v[14:15], v[172:173], -v[0:1]
	v_mul_f64_e32 v[0:1], v[14:15], v[174:175]
	v_add_f64_e32 v[251:252], v[198:199], v[234:235]
	s_delay_alu instid0(VALU_DEP_2)
	v_fma_f64 v[236:237], v[16:17], v[172:173], v[0:1]
	ds_load_b128 v[0:3], v255 offset:22464
	v_add_f64_e64 v[247:248], v[198:199], -v[234:235]
	s_wait_loadcnt_dscnt 0x0
	v_mul_f64_e32 v[10:11], v[0:1], v[178:179]
	v_add_f64_e64 v[245:246], v[200:201], -v[236:237]
	v_add_f64_e32 v[253:254], v[200:201], v[236:237]
	s_delay_alu instid0(VALU_DEP_3) | instskip(SKIP_1) | instid1(VALU_DEP_2)
	v_fma_f64 v[238:239], v[2:3], v[176:177], v[10:11]
	v_mul_f64_e32 v[2:3], v[2:3], v[178:179]
	v_add_f64_e32 v[40:41], v[18:19], v[238:239]
	s_delay_alu instid0(VALU_DEP_2) | instskip(SKIP_1) | instid1(VALU_DEP_2)
	v_fma_f64 v[241:242], v[0:1], v[176:177], -v[2:3]
	v_add_f64_e64 v[0:1], v[18:19], -v[238:239]
	v_add_f64_e32 v[22:23], v[20:21], v[241:242]
	s_delay_alu instid0(VALU_DEP_2)
	v_mul_f64_e32 v[16:17], s[10:11], v[0:1]
	v_mul_f64_e32 v[2:3], s[30:31], v[0:1]
	;; [unrolled: 1-line block ×6, first 2 shown]
	v_fma_f64 v[42:43], v[22:23], s[16:17], -v[16:17]
	v_fma_f64 v[44:45], v[22:23], s[16:17], v[16:17]
	v_add_f64_e64 v[16:17], v[20:21], -v[241:242]
	v_fma_f64 v[24:25], v[22:23], s[28:29], -v[2:3]
	v_fma_f64 v[2:3], v[22:23], s[28:29], v[2:3]
	v_fma_f64 v[26:27], v[22:23], s[24:25], -v[10:11]
	v_fma_f64 v[10:11], v[22:23], s[24:25], v[10:11]
	;; [unrolled: 2-line block ×5, first 2 shown]
	v_mul_f64_e32 v[22:23], s[30:31], v[16:17]
	v_mul_f64_e32 v[30:31], s[18:19], v[16:17]
	v_mul_f64_e32 v[34:35], s[20:21], v[16:17]
	v_mul_f64_e32 v[36:37], s[14:15], v[16:17]
	v_mul_f64_e32 v[38:39], s[10:11], v[16:17]
	v_mul_f64_e32 v[16:17], s[2:3], v[16:17]
	v_add_f64_e32 v[24:25], v[6:7], v[24:25]
	v_add_f64_e32 v[192:193], v[6:7], v[2:3]
	;; [unrolled: 1-line block ×5, first 2 shown]
	scratch_store_b64 off, v[4:5], off offset:336 ; 8-byte Folded Spill
	v_add_f64_e32 v[4:5], v[8:9], v[18:19]
	v_fma_f64 v[48:49], v[40:41], s[28:29], v[22:23]
	v_fma_f64 v[22:23], v[40:41], s[28:29], -v[22:23]
	v_fma_f64 v[52:53], v[40:41], s[24:25], v[30:31]
	v_fma_f64 v[30:31], v[40:41], s[24:25], -v[30:31]
	v_fma_f64 v[190:191], v[40:41], s[16:17], -v[38:39]
	;; [unrolled: 1-line block ×3, first 2 shown]
	v_fma_f64 v[194:195], v[40:41], s[12:13], v[16:17]
	v_fma_f64 v[56:57], v[40:41], s[26:27], v[34:35]
	v_fma_f64 v[58:59], v[40:41], s[26:27], -v[34:35]
	v_fma_f64 v[60:61], v[40:41], s[22:23], v[36:37]
	scratch_store_b64 off, v[0:1], off offset:352 ; 8-byte Folded Spill
	v_fma_f64 v[62:63], v[40:41], s[22:23], -v[36:37]
	v_fma_f64 v[188:189], v[40:41], s[16:17], v[38:39]
	v_add_f64_e32 v[40:41], v[6:7], v[10:11]
	v_add_f64_e32 v[16:17], v[6:7], v[14:15]
	;; [unrolled: 1-line block ×9, first 2 shown]
	scratch_store_b64 off, v[4:5], off offset:344 ; 8-byte Folded Spill
	v_add_f64_e32 v[4:5], v[6:7], v[44:45]
	v_add_f64_e32 v[34:35], v[8:9], v[56:57]
	;; [unrolled: 1-line block ×7, first 2 shown]
	v_add_f64_e64 v[22:23], v[204:205], -v[232:233]
	v_mul_f64_e32 v[62:63], s[10:11], v[243:244]
	s_clause 0x1
	scratch_store_b64 off, v[0:1], off offset:360
	scratch_store_b64 off, v[4:5], off offset:392
	v_add_f64_e32 v[4:5], v[8:9], v[190:191]
	v_mul_f64_e32 v[52:53], s[20:21], v[22:23]
	scratch_store_b64 off, v[4:5], off offset:384 ; 8-byte Folded Spill
	v_add_f64_e32 v[4:5], v[6:7], v[46:47]
	scratch_store_b64 off, v[4:5], off offset:376 ; 8-byte Folded Spill
	v_add_f64_e32 v[4:5], v[8:9], v[194:195]
	v_mul_f64_e32 v[194:195], s[18:19], v[245:246]
	scratch_store_b64 off, v[4:5], off offset:368 ; 8-byte Folded Spill
	v_fma_f64 v[0:1], v[251:252], s[24:25], -v[194:195]
	v_mul_f64_e32 v[4:5], s[10:11], v[249:250]
	s_delay_alu instid0(VALU_DEP_2) | instskip(SKIP_1) | instid1(VALU_DEP_1)
	v_add_f64_e32 v[8:9], v[0:1], v[24:25]
	v_mul_f64_e32 v[0:1], s[18:19], v[247:248]
	v_fma_f64 v[6:7], v[253:254], s[24:25], v[0:1]
	v_fma_f64 v[0:1], v[253:254], s[24:25], -v[0:1]
	s_delay_alu instid0(VALU_DEP_2) | instskip(SKIP_1) | instid1(VALU_DEP_3)
	v_add_f64_e32 v[28:29], v[6:7], v[48:49]
	v_add_f64_e32 v[6:7], v[202:203], v[230:231]
	;; [unrolled: 1-line block ×3, first 2 shown]
	s_delay_alu instid0(VALU_DEP_2) | instskip(SKIP_1) | instid1(VALU_DEP_2)
	v_fma_f64 v[24:25], v[6:7], s[26:27], -v[52:53]
	v_fma_f64 v[50:51], v[6:7], s[26:27], v[52:53]
	v_add_f64_e32 v[32:33], v[24:25], v[8:9]
	v_add_f64_e64 v[24:25], v[202:203], -v[230:231]
	v_add_f64_e32 v[8:9], v[204:205], v[232:233]
	s_delay_alu instid0(VALU_DEP_2) | instskip(NEXT) | instid1(VALU_DEP_1)
	v_mul_f64_e32 v[46:47], s[20:21], v[24:25]
	v_fma_f64 v[42:43], v[8:9], s[26:27], v[46:47]
	v_fma_f64 v[46:47], v[8:9], s[26:27], -v[46:47]
	s_delay_alu instid0(VALU_DEP_2) | instskip(SKIP_2) | instid1(VALU_DEP_4)
	v_add_f64_e32 v[48:49], v[42:43], v[28:29]
	v_add_f64_e64 v[42:43], v[208:209], -v[228:229]
	v_add_f64_e32 v[28:29], v[206:207], v[226:227]
	v_add_f64_e32 v[0:1], v[46:47], v[0:1]
	s_delay_alu instid0(VALU_DEP_3) | instskip(NEXT) | instid1(VALU_DEP_1)
	v_mul_f64_e32 v[58:59], s[14:15], v[42:43]
	v_fma_f64 v[44:45], v[28:29], s[22:23], -v[58:59]
	v_fma_f64 v[46:47], v[28:29], s[22:23], v[58:59]
	s_delay_alu instid0(VALU_DEP_2) | instskip(SKIP_2) | instid1(VALU_DEP_2)
	v_add_f64_e32 v[56:57], v[44:45], v[32:33]
	v_add_f64_e64 v[44:45], v[206:207], -v[226:227]
	v_add_f64_e32 v[32:33], v[208:209], v[228:229]
	v_mul_f64_e32 v[196:197], s[14:15], v[44:45]
	s_delay_alu instid0(VALU_DEP_1) | instskip(NEXT) | instid1(VALU_DEP_1)
	v_fma_f64 v[60:61], v[32:33], s[22:23], v[196:197]
	v_add_f64_e32 v[60:61], v[60:61], v[48:49]
	v_add_f64_e32 v[48:49], v[210:211], v[222:223]
	s_delay_alu instid0(VALU_DEP_1) | instskip(NEXT) | instid1(VALU_DEP_1)
	v_fma_f64 v[188:189], v[48:49], s[16:17], -v[62:63]
	v_add_f64_e32 v[188:189], v[188:189], v[56:57]
	v_add_f64_e32 v[56:57], v[212:213], v[224:225]
	s_delay_alu instid0(VALU_DEP_2) | instskip(SKIP_1) | instid1(VALU_DEP_3)
	v_add_f64_e32 v[188:189], v[70:71], v[188:189]
	v_add_f64_e64 v[70:71], v[214:215], -v[218:219]
	v_fma_f64 v[190:191], v[56:57], s[16:17], v[4:5]
	v_fma_f64 v[4:5], v[56:57], s[16:17], -v[4:5]
	s_delay_alu instid0(VALU_DEP_3) | instskip(NEXT) | instid1(VALU_DEP_3)
	v_mul_f64_e32 v[74:75], s[2:3], v[70:71]
	v_add_f64_e32 v[60:61], v[190:191], v[60:61]
	s_delay_alu instid0(VALU_DEP_2) | instskip(NEXT) | instid1(VALU_DEP_1)
	v_fma_f64 v[190:191], v[72:73], s[12:13], v[74:75]
	v_add_f64_e32 v[190:191], v[190:191], v[60:61]
	v_fma_f64 v[60:61], v[251:252], s[24:25], v[194:195]
	s_delay_alu instid0(VALU_DEP_1) | instskip(NEXT) | instid1(VALU_DEP_1)
	v_add_f64_e32 v[60:61], v[60:61], v[192:193]
	v_add_f64_e32 v[50:51], v[50:51], v[60:61]
	s_delay_alu instid0(VALU_DEP_1) | instskip(SKIP_1) | instid1(VALU_DEP_1)
	v_add_f64_e32 v[46:47], v[46:47], v[50:51]
	v_fma_f64 v[50:51], v[32:33], s[22:23], -v[196:197]
	v_add_f64_e32 v[0:1], v[50:51], v[0:1]
	v_fma_f64 v[50:51], v[48:49], s[16:17], v[62:63]
	s_delay_alu instid0(VALU_DEP_2) | instskip(NEXT) | instid1(VALU_DEP_2)
	v_add_f64_e32 v[0:1], v[4:5], v[0:1]
	v_add_f64_e32 v[46:47], v[50:51], v[46:47]
	v_fma_f64 v[4:5], v[66:67], s[12:13], v[68:69]
	v_fma_f64 v[50:51], v[72:73], s[12:13], -v[74:75]
	s_delay_alu instid0(VALU_DEP_2) | instskip(SKIP_1) | instid1(VALU_DEP_3)
	v_add_f64_e32 v[192:193], v[4:5], v[46:47]
	v_mul_f64_e32 v[4:5], s[14:15], v[245:246]
	v_add_f64_e32 v[194:195], v[50:51], v[0:1]
	v_mul_f64_e32 v[50:51], s[2:3], v[22:23]
	v_mul_f64_e32 v[46:47], s[14:15], v[247:248]
	s_delay_alu instid0(VALU_DEP_4) | instskip(SKIP_1) | instid1(VALU_DEP_4)
	v_fma_f64 v[0:1], v[251:252], s[22:23], -v[4:5]
	v_fma_f64 v[4:5], v[251:252], s[22:23], v[4:5]
	v_fma_f64 v[52:53], v[6:7], s[12:13], -v[50:51]
	s_delay_alu instid0(VALU_DEP_3) | instskip(SKIP_1) | instid1(VALU_DEP_4)
	v_add_f64_e32 v[0:1], v[0:1], v[2:3]
	v_fma_f64 v[2:3], v[253:254], s[22:23], v[46:47]
	v_add_f64_e32 v[4:5], v[4:5], v[40:41]
	v_fma_f64 v[40:41], v[253:254], s[22:23], -v[46:47]
	s_delay_alu instid0(VALU_DEP_4) | instskip(SKIP_2) | instid1(VALU_DEP_4)
	v_add_f64_e32 v[0:1], v[52:53], v[0:1]
	v_mul_f64_e32 v[52:53], s[2:3], v[24:25]
	v_add_f64_e32 v[2:3], v[2:3], v[54:55]
	v_add_f64_e32 v[38:39], v[40:41], v[38:39]
	v_fma_f64 v[40:41], v[6:7], s[12:13], v[50:51]
	s_delay_alu instid0(VALU_DEP_4) | instskip(NEXT) | instid1(VALU_DEP_2)
	v_fma_f64 v[54:55], v[8:9], s[12:13], v[52:53]
	v_add_f64_e32 v[4:5], v[40:41], v[4:5]
	v_fma_f64 v[40:41], v[8:9], s[12:13], -v[52:53]
	s_delay_alu instid0(VALU_DEP_3) | instskip(SKIP_2) | instid1(VALU_DEP_3)
	v_add_f64_e32 v[2:3], v[54:55], v[2:3]
	s_wait_alu 0xfffe
	v_mul_f64_e32 v[54:55], s[38:39], v[42:43]
	v_add_f64_e32 v[38:39], v[40:41], v[38:39]
	s_delay_alu instid0(VALU_DEP_2) | instskip(SKIP_1) | instid1(VALU_DEP_2)
	v_fma_f64 v[58:59], v[28:29], s[16:17], -v[54:55]
	v_fma_f64 v[40:41], v[28:29], s[16:17], v[54:55]
	v_add_f64_e32 v[0:1], v[58:59], v[0:1]
	v_mul_f64_e32 v[58:59], s[38:39], v[44:45]
	s_delay_alu instid0(VALU_DEP_3) | instskip(NEXT) | instid1(VALU_DEP_2)
	v_add_f64_e32 v[4:5], v[40:41], v[4:5]
	v_fma_f64 v[60:61], v[32:33], s[16:17], v[58:59]
	v_fma_f64 v[40:41], v[32:33], s[16:17], -v[58:59]
	s_delay_alu instid0(VALU_DEP_2) | instskip(SKIP_1) | instid1(VALU_DEP_3)
	v_add_f64_e32 v[2:3], v[60:61], v[2:3]
	v_mul_f64_e32 v[60:61], s[34:35], v[243:244]
	v_add_f64_e32 v[38:39], v[40:41], v[38:39]
	s_delay_alu instid0(VALU_DEP_2) | instskip(SKIP_1) | instid1(VALU_DEP_2)
	v_fma_f64 v[62:63], v[48:49], s[26:27], -v[60:61]
	v_fma_f64 v[40:41], v[48:49], s[26:27], v[60:61]
	v_add_f64_e32 v[0:1], v[62:63], v[0:1]
	v_mul_f64_e32 v[62:63], s[34:35], v[249:250]
	s_delay_alu instid0(VALU_DEP_3) | instskip(NEXT) | instid1(VALU_DEP_2)
	v_add_f64_e32 v[4:5], v[40:41], v[4:5]
	v_fma_f64 v[68:69], v[56:57], s[26:27], v[62:63]
	v_fma_f64 v[40:41], v[56:57], s[26:27], -v[62:63]
	s_delay_alu instid0(VALU_DEP_2) | instskip(SKIP_1) | instid1(VALU_DEP_3)
	v_add_f64_e32 v[2:3], v[68:69], v[2:3]
	v_mul_f64_e32 v[68:69], s[36:37], v[64:65]
	v_add_f64_e32 v[40:41], v[40:41], v[38:39]
	s_delay_alu instid0(VALU_DEP_2) | instskip(SKIP_1) | instid1(VALU_DEP_2)
	v_fma_f64 v[74:75], v[66:67], s[28:29], -v[68:69]
	v_fma_f64 v[38:39], v[66:67], s[28:29], v[68:69]
	v_add_f64_e32 v[0:1], v[74:75], v[0:1]
	v_mul_f64_e32 v[74:75], s[36:37], v[70:71]
	s_delay_alu instid0(VALU_DEP_3) | instskip(SKIP_1) | instid1(VALU_DEP_3)
	v_add_f64_e32 v[38:39], v[38:39], v[4:5]
	v_mul_f64_e32 v[4:5], s[2:3], v[245:246]
	v_fma_f64 v[46:47], v[72:73], s[28:29], -v[74:75]
	v_fma_f64 v[196:197], v[72:73], s[28:29], v[74:75]
	v_mul_f64_e32 v[74:75], s[10:11], v[64:65]
	s_delay_alu instid0(VALU_DEP_3) | instskip(SKIP_4) | instid1(VALU_DEP_4)
	v_add_f64_e32 v[40:41], v[46:47], v[40:41]
	v_fma_f64 v[46:47], v[251:252], s[12:13], -v[4:5]
	v_fma_f64 v[4:5], v[251:252], s[12:13], v[4:5]
	v_add_f64_e32 v[2:3], v[196:197], v[2:3]
	v_mul_f64_e32 v[196:197], s[10:11], v[70:71]
	v_add_f64_e32 v[36:37], v[46:47], v[36:37]
	v_mul_f64_e32 v[46:47], s[2:3], v[247:248]
	v_add_f64_e32 v[4:5], v[4:5], v[30:31]
	s_delay_alu instid0(VALU_DEP_2) | instskip(SKIP_2) | instid1(VALU_DEP_3)
	v_fma_f64 v[50:51], v[253:254], s[12:13], v[46:47]
	v_fma_f64 v[30:31], v[253:254], s[12:13], -v[46:47]
	v_fma_f64 v[46:47], v[72:73], s[16:17], -v[196:197]
	v_add_f64_e32 v[34:35], v[50:51], v[34:35]
	v_mul_f64_e32 v[50:51], s[40:41], v[22:23]
	s_delay_alu instid0(VALU_DEP_4) | instskip(NEXT) | instid1(VALU_DEP_2)
	v_add_f64_e32 v[26:27], v[30:31], v[26:27]
	v_fma_f64 v[52:53], v[6:7], s[22:23], -v[50:51]
	v_fma_f64 v[30:31], v[6:7], s[22:23], v[50:51]
	s_delay_alu instid0(VALU_DEP_2) | instskip(SKIP_1) | instid1(VALU_DEP_3)
	v_add_f64_e32 v[36:37], v[52:53], v[36:37]
	v_mul_f64_e32 v[52:53], s[40:41], v[24:25]
	v_add_f64_e32 v[4:5], v[30:31], v[4:5]
	s_delay_alu instid0(VALU_DEP_2) | instskip(SKIP_1) | instid1(VALU_DEP_2)
	v_fma_f64 v[54:55], v[8:9], s[22:23], v[52:53]
	v_fma_f64 v[30:31], v[8:9], s[22:23], -v[52:53]
	v_add_f64_e32 v[34:35], v[54:55], v[34:35]
	v_mul_f64_e32 v[54:55], s[36:37], v[42:43]
	s_delay_alu instid0(VALU_DEP_3) | instskip(NEXT) | instid1(VALU_DEP_2)
	v_add_f64_e32 v[26:27], v[30:31], v[26:27]
	v_fma_f64 v[58:59], v[28:29], s[28:29], -v[54:55]
	v_fma_f64 v[30:31], v[28:29], s[28:29], v[54:55]
	s_delay_alu instid0(VALU_DEP_2) | instskip(SKIP_1) | instid1(VALU_DEP_3)
	v_add_f64_e32 v[36:37], v[58:59], v[36:37]
	v_mul_f64_e32 v[58:59], s[36:37], v[44:45]
	v_add_f64_e32 v[4:5], v[30:31], v[4:5]
	s_delay_alu instid0(VALU_DEP_2) | instskip(SKIP_1) | instid1(VALU_DEP_2)
	v_fma_f64 v[60:61], v[32:33], s[28:29], v[58:59]
	v_fma_f64 v[30:31], v[32:33], s[28:29], -v[58:59]
	v_add_f64_e32 v[34:35], v[60:61], v[34:35]
	v_mul_f64_e32 v[60:61], s[18:19], v[243:244]
	s_delay_alu instid0(VALU_DEP_3) | instskip(NEXT) | instid1(VALU_DEP_2)
	v_add_f64_e32 v[26:27], v[30:31], v[26:27]
	v_fma_f64 v[62:63], v[48:49], s[24:25], -v[60:61]
	v_fma_f64 v[30:31], v[48:49], s[24:25], v[60:61]
	s_delay_alu instid0(VALU_DEP_2) | instskip(SKIP_1) | instid1(VALU_DEP_3)
	v_add_f64_e32 v[36:37], v[62:63], v[36:37]
	v_mul_f64_e32 v[62:63], s[18:19], v[249:250]
	v_add_f64_e32 v[4:5], v[30:31], v[4:5]
	s_delay_alu instid0(VALU_DEP_2) | instskip(SKIP_1) | instid1(VALU_DEP_2)
	v_fma_f64 v[30:31], v[56:57], s[24:25], -v[62:63]
	v_fma_f64 v[68:69], v[56:57], s[24:25], v[62:63]
	v_add_f64_e32 v[26:27], v[30:31], v[26:27]
	v_fma_f64 v[30:31], v[66:67], s[16:17], v[74:75]
	s_delay_alu instid0(VALU_DEP_3)
	v_add_f64_e32 v[68:69], v[68:69], v[34:35]
	v_fma_f64 v[34:35], v[66:67], s[16:17], -v[74:75]
	v_mul_f64_e32 v[74:75], s[42:43], v[64:65]
	v_add_f64_e32 v[52:53], v[46:47], v[26:27]
	v_add_f64_e32 v[50:51], v[30:31], v[4:5]
	v_mul_f64_e32 v[4:5], s[38:39], v[245:246]
	v_add_f64_e32 v[34:35], v[34:35], v[36:37]
	v_fma_f64 v[36:37], v[72:73], s[16:17], v[196:197]
	v_mul_f64_e32 v[196:197], s[42:43], v[70:71]
	s_delay_alu instid0(VALU_DEP_4) | instskip(SKIP_1) | instid1(VALU_DEP_4)
	v_fma_f64 v[26:27], v[251:252], s[16:17], -v[4:5]
	v_fma_f64 v[4:5], v[251:252], s[16:17], v[4:5]
	v_add_f64_e32 v[36:37], v[36:37], v[68:69]
	s_delay_alu instid0(VALU_DEP_3) | instskip(SKIP_1) | instid1(VALU_DEP_4)
	v_add_f64_e32 v[20:21], v[26:27], v[20:21]
	v_mul_f64_e32 v[26:27], s[38:39], v[247:248]
	v_add_f64_e32 v[4:5], v[4:5], v[16:17]
	s_delay_alu instid0(VALU_DEP_2) | instskip(SKIP_2) | instid1(VALU_DEP_3)
	v_fma_f64 v[30:31], v[253:254], s[16:17], v[26:27]
	v_fma_f64 v[16:17], v[253:254], s[16:17], -v[26:27]
	v_fma_f64 v[26:27], v[72:73], s[24:25], -v[196:197]
	v_add_f64_e32 v[18:19], v[30:31], v[18:19]
	v_mul_f64_e32 v[30:31], s[36:37], v[22:23]
	s_delay_alu instid0(VALU_DEP_4) | instskip(NEXT) | instid1(VALU_DEP_2)
	v_add_f64_e32 v[14:15], v[16:17], v[14:15]
	v_fma_f64 v[46:47], v[6:7], s[28:29], -v[30:31]
	v_fma_f64 v[16:17], v[6:7], s[28:29], v[30:31]
	s_delay_alu instid0(VALU_DEP_2) | instskip(SKIP_1) | instid1(VALU_DEP_3)
	v_add_f64_e32 v[20:21], v[46:47], v[20:21]
	v_mul_f64_e32 v[46:47], s[36:37], v[24:25]
	v_add_f64_e32 v[4:5], v[16:17], v[4:5]
	s_delay_alu instid0(VALU_DEP_2) | instskip(SKIP_1) | instid1(VALU_DEP_2)
	v_fma_f64 v[54:55], v[8:9], s[28:29], v[46:47]
	v_fma_f64 v[16:17], v[8:9], s[28:29], -v[46:47]
	v_add_f64_e32 v[18:19], v[54:55], v[18:19]
	v_mul_f64_e32 v[54:55], s[20:21], v[42:43]
	s_delay_alu instid0(VALU_DEP_3) | instskip(NEXT) | instid1(VALU_DEP_2)
	v_add_f64_e32 v[14:15], v[16:17], v[14:15]
	v_fma_f64 v[58:59], v[28:29], s[26:27], -v[54:55]
	v_fma_f64 v[16:17], v[28:29], s[26:27], v[54:55]
	s_delay_alu instid0(VALU_DEP_2) | instskip(SKIP_1) | instid1(VALU_DEP_3)
	v_add_f64_e32 v[20:21], v[58:59], v[20:21]
	v_mul_f64_e32 v[58:59], s[20:21], v[44:45]
	v_add_f64_e32 v[4:5], v[16:17], v[4:5]
	s_delay_alu instid0(VALU_DEP_2) | instskip(SKIP_1) | instid1(VALU_DEP_2)
	v_fma_f64 v[60:61], v[32:33], s[26:27], v[58:59]
	v_fma_f64 v[16:17], v[32:33], s[26:27], -v[58:59]
	v_add_f64_e32 v[18:19], v[60:61], v[18:19]
	v_mul_f64_e32 v[60:61], s[44:45], v[243:244]
	s_delay_alu instid0(VALU_DEP_3) | instskip(NEXT) | instid1(VALU_DEP_2)
	v_add_f64_e32 v[14:15], v[16:17], v[14:15]
	v_fma_f64 v[62:63], v[48:49], s[12:13], -v[60:61]
	v_fma_f64 v[16:17], v[48:49], s[12:13], v[60:61]
	s_delay_alu instid0(VALU_DEP_2) | instskip(SKIP_1) | instid1(VALU_DEP_3)
	v_add_f64_e32 v[20:21], v[62:63], v[20:21]
	v_mul_f64_e32 v[62:63], s[44:45], v[249:250]
	v_add_f64_e32 v[4:5], v[16:17], v[4:5]
	s_delay_alu instid0(VALU_DEP_2) | instskip(SKIP_1) | instid1(VALU_DEP_2)
	v_fma_f64 v[16:17], v[56:57], s[12:13], -v[62:63]
	v_fma_f64 v[68:69], v[56:57], s[12:13], v[62:63]
	v_add_f64_e32 v[16:17], v[16:17], v[14:15]
	v_fma_f64 v[14:15], v[66:67], s[24:25], v[74:75]
	s_delay_alu instid0(VALU_DEP_3)
	v_add_f64_e32 v[68:69], v[68:69], v[18:19]
	v_fma_f64 v[18:19], v[66:67], s[24:25], -v[74:75]
	v_mul_f64_e32 v[74:75], s[14:15], v[64:65]
	v_mul_f64_e32 v[64:65], s[34:35], v[64:65]
	v_add_f64_e32 v[16:17], v[26:27], v[16:17]
	v_add_f64_e32 v[14:15], v[14:15], v[4:5]
	v_mul_f64_e32 v[4:5], s[34:35], v[245:246]
	v_add_f64_e32 v[18:19], v[18:19], v[20:21]
	v_fma_f64 v[20:21], v[72:73], s[24:25], v[196:197]
	v_mul_f64_e32 v[196:197], s[14:15], v[70:71]
	s_delay_alu instid0(VALU_DEP_4) | instskip(SKIP_1) | instid1(VALU_DEP_4)
	v_fma_f64 v[26:27], v[251:252], s[26:27], -v[4:5]
	v_fma_f64 v[4:5], v[251:252], s[26:27], v[4:5]
	v_add_f64_e32 v[20:21], v[20:21], v[68:69]
	s_delay_alu instid0(VALU_DEP_3) | instskip(SKIP_1) | instid1(VALU_DEP_1)
	v_add_f64_e32 v[12:13], v[26:27], v[12:13]
	v_mul_f64_e32 v[26:27], s[34:35], v[247:248]
	v_fma_f64 v[30:31], v[253:254], s[26:27], v[26:27]
	v_fma_f64 v[26:27], v[253:254], s[26:27], -v[26:27]
	s_delay_alu instid0(VALU_DEP_2) | instskip(SKIP_1) | instid1(VALU_DEP_1)
	v_add_f64_e32 v[10:11], v[30:31], v[10:11]
	v_mul_f64_e32 v[30:31], s[18:19], v[22:23]
	v_fma_f64 v[46:47], v[6:7], s[24:25], -v[30:31]
	v_fma_f64 v[30:31], v[6:7], s[24:25], v[30:31]
	s_delay_alu instid0(VALU_DEP_2) | instskip(SKIP_1) | instid1(VALU_DEP_1)
	v_add_f64_e32 v[12:13], v[46:47], v[12:13]
	v_mul_f64_e32 v[46:47], s[18:19], v[24:25]
	v_fma_f64 v[54:55], v[8:9], s[24:25], v[46:47]
	s_delay_alu instid0(VALU_DEP_1) | instskip(SKIP_2) | instid1(VALU_DEP_2)
	v_add_f64_e32 v[10:11], v[54:55], v[10:11]
	v_mul_f64_e32 v[54:55], s[44:45], v[42:43]
	v_mul_f64_e32 v[42:43], s[42:43], v[42:43]
	v_fma_f64 v[58:59], v[28:29], s[12:13], -v[54:55]
	s_delay_alu instid0(VALU_DEP_1) | instskip(SKIP_2) | instid1(VALU_DEP_2)
	v_add_f64_e32 v[12:13], v[58:59], v[12:13]
	v_mul_f64_e32 v[58:59], s[44:45], v[44:45]
	v_mul_f64_e32 v[44:45], s[42:43], v[44:45]
	v_fma_f64 v[60:61], v[32:33], s[12:13], v[58:59]
	s_delay_alu instid0(VALU_DEP_1) | instskip(SKIP_1) | instid1(VALU_DEP_1)
	v_add_f64_e32 v[10:11], v[60:61], v[10:11]
	v_mul_f64_e32 v[60:61], s[36:37], v[243:244]
	v_fma_f64 v[62:63], v[48:49], s[28:29], -v[60:61]
	s_delay_alu instid0(VALU_DEP_1) | instskip(SKIP_1) | instid1(VALU_DEP_1)
	v_add_f64_e32 v[12:13], v[62:63], v[12:13]
	v_mul_f64_e32 v[62:63], s[36:37], v[249:250]
	v_fma_f64 v[68:69], v[56:57], s[28:29], v[62:63]
	s_delay_alu instid0(VALU_DEP_1) | instskip(SKIP_1) | instid1(VALU_DEP_1)
	v_add_f64_e32 v[68:69], v[68:69], v[10:11]
	v_fma_f64 v[10:11], v[66:67], s[22:23], -v[74:75]
	v_add_f64_e32 v[10:11], v[10:11], v[12:13]
	v_fma_f64 v[12:13], v[72:73], s[22:23], v[196:197]
	s_delay_alu instid0(VALU_DEP_1)
	v_add_f64_e32 v[12:13], v[12:13], v[68:69]
	scratch_load_b64 v[68:69], off, off offset:392 th:TH_LOAD_LU ; 8-byte Folded Reload
	s_wait_loadcnt 0x0
	v_add_f64_e32 v[4:5], v[4:5], v[68:69]
	scratch_load_b64 v[68:69], off, off offset:384 th:TH_LOAD_LU ; 8-byte Folded Reload
	v_add_f64_e32 v[4:5], v[30:31], v[4:5]
	v_fma_f64 v[30:31], v[8:9], s[24:25], -v[46:47]
	v_fma_f64 v[46:47], v[72:73], s[22:23], -v[196:197]
	s_wait_loadcnt 0x0
	v_add_f64_e32 v[26:27], v[26:27], v[68:69]
	s_delay_alu instid0(VALU_DEP_1) | instskip(SKIP_4) | instid1(VALU_DEP_1)
	v_add_f64_e32 v[26:27], v[30:31], v[26:27]
	v_fma_f64 v[30:31], v[28:29], s[12:13], v[54:55]
	scratch_load_b64 v[54:55], off, off offset:368 th:TH_LOAD_LU ; 8-byte Folded Reload
	v_add_f64_e32 v[4:5], v[30:31], v[4:5]
	v_fma_f64 v[30:31], v[32:33], s[12:13], -v[58:59]
	v_add_f64_e32 v[26:27], v[30:31], v[26:27]
	v_fma_f64 v[30:31], v[48:49], s[28:29], v[60:61]
	s_delay_alu instid0(VALU_DEP_1) | instskip(SKIP_1) | instid1(VALU_DEP_1)
	v_add_f64_e32 v[4:5], v[30:31], v[4:5]
	v_fma_f64 v[30:31], v[56:57], s[28:29], -v[62:63]
	v_add_f64_e32 v[26:27], v[30:31], v[26:27]
	v_fma_f64 v[30:31], v[66:67], s[22:23], v[74:75]
	s_delay_alu instid0(VALU_DEP_2) | instskip(NEXT) | instid1(VALU_DEP_2)
	v_add_f64_e32 v[60:61], v[46:47], v[26:27]
	v_add_f64_e32 v[58:59], v[30:31], v[4:5]
	scratch_load_b64 v[30:31], off, off offset:376 th:TH_LOAD_LU ; 8-byte Folded Reload
	v_mul_f64_e32 v[4:5], s[36:37], v[245:246]
	s_delay_alu instid0(VALU_DEP_1) | instskip(SKIP_2) | instid1(VALU_DEP_2)
	v_fma_f64 v[26:27], v[251:252], s[28:29], -v[4:5]
	v_fma_f64 v[4:5], v[251:252], s[28:29], v[4:5]
	s_wait_loadcnt 0x0
	v_add_f64_e32 v[26:27], v[26:27], v[30:31]
	v_mul_f64_e32 v[30:31], s[36:37], v[247:248]
	s_delay_alu instid0(VALU_DEP_1) | instskip(SKIP_1) | instid1(VALU_DEP_2)
	v_fma_f64 v[46:47], v[253:254], s[28:29], v[30:31]
	v_fma_f64 v[30:31], v[253:254], s[28:29], -v[30:31]
	v_add_f64_e32 v[46:47], v[46:47], v[54:55]
	v_mul_f64_e32 v[54:55], s[10:11], v[22:23]
	s_delay_alu instid0(VALU_DEP_1) | instskip(SKIP_1) | instid1(VALU_DEP_2)
	v_fma_f64 v[22:23], v[6:7], s[16:17], -v[54:55]
	v_fma_f64 v[6:7], v[6:7], s[16:17], v[54:55]
	v_add_f64_e32 v[22:23], v[22:23], v[26:27]
	v_mul_f64_e32 v[26:27], s[10:11], v[24:25]
	s_delay_alu instid0(VALU_DEP_1)
	v_fma_f64 v[24:25], v[8:9], s[16:17], v[26:27]
	v_fma_f64 v[8:9], v[8:9], s[16:17], -v[26:27]
	scratch_load_b64 v[26:27], off, off offset:352 th:TH_LOAD_LU ; 8-byte Folded Reload
	v_add_f64_e32 v[24:25], v[24:25], v[46:47]
	v_fma_f64 v[46:47], v[28:29], s[24:25], -v[42:43]
	v_fma_f64 v[28:29], v[28:29], s[24:25], v[42:43]
	s_delay_alu instid0(VALU_DEP_2) | instskip(SKIP_1) | instid1(VALU_DEP_1)
	v_add_f64_e32 v[22:23], v[46:47], v[22:23]
	v_fma_f64 v[46:47], v[32:33], s[24:25], v[44:45]
	v_add_f64_e32 v[24:25], v[46:47], v[24:25]
	v_mul_f64_e32 v[46:47], s[14:15], v[243:244]
	s_delay_alu instid0(VALU_DEP_1) | instskip(NEXT) | instid1(VALU_DEP_1)
	v_fma_f64 v[62:63], v[48:49], s[22:23], -v[46:47]
	v_add_f64_e32 v[22:23], v[62:63], v[22:23]
	v_mul_f64_e32 v[62:63], s[14:15], v[249:250]
	s_delay_alu instid0(VALU_DEP_1) | instskip(NEXT) | instid1(VALU_DEP_1)
	v_fma_f64 v[68:69], v[56:57], s[22:23], v[62:63]
	v_add_f64_e32 v[24:25], v[68:69], v[24:25]
	v_mul_f64_e32 v[68:69], s[34:35], v[70:71]
	v_fma_f64 v[70:71], v[66:67], s[26:27], -v[64:65]
	s_delay_alu instid0(VALU_DEP_1) | instskip(NEXT) | instid1(VALU_DEP_3)
	v_add_f64_e32 v[22:23], v[70:71], v[22:23]
	v_fma_f64 v[70:71], v[72:73], s[26:27], v[68:69]
	s_wait_loadcnt 0x0
	v_add_f64_e32 v[4:5], v[4:5], v[26:27]
	scratch_load_b64 v[26:27], off, off offset:360 th:TH_LOAD_LU ; 8-byte Folded Reload
	v_add_f64_e32 v[24:25], v[70:71], v[24:25]
	v_add_f64_e32 v[4:5], v[6:7], v[4:5]
	s_delay_alu instid0(VALU_DEP_1) | instskip(SKIP_4) | instid1(VALU_DEP_2)
	v_add_f64_e32 v[4:5], v[28:29], v[4:5]
	v_fma_f64 v[28:29], v[66:67], s[26:27], v[64:65]
	s_wait_loadcnt 0x0
	v_add_f64_e32 v[26:27], v[30:31], v[26:27]
	v_fma_f64 v[30:31], v[32:33], s[24:25], -v[44:45]
	v_add_f64_e32 v[6:7], v[8:9], v[26:27]
	v_fma_f64 v[8:9], v[48:49], s[22:23], v[46:47]
	v_fma_f64 v[26:27], v[56:57], s[22:23], -v[62:63]
	s_delay_alu instid0(VALU_DEP_3) | instskip(NEXT) | instid1(VALU_DEP_3)
	v_add_f64_e32 v[6:7], v[30:31], v[6:7]
	v_add_f64_e32 v[4:5], v[8:9], v[4:5]
	v_fma_f64 v[30:31], v[72:73], s[26:27], -v[68:69]
	s_delay_alu instid0(VALU_DEP_3) | instskip(NEXT) | instid1(VALU_DEP_3)
	v_add_f64_e32 v[8:9], v[26:27], v[6:7]
	v_add_f64_e32 v[6:7], v[28:29], v[4:5]
	s_clause 0x1
	scratch_load_b64 v[4:5], off, off offset:336 th:TH_LOAD_LU
	scratch_load_b64 v[26:27], off, off offset:344 th:TH_LOAD_LU
	v_add_f64_e32 v[8:9], v[30:31], v[8:9]
	s_wait_loadcnt 0x1
	v_add_f64_e32 v[4:5], v[4:5], v[198:199]
	s_wait_loadcnt 0x0
	v_add_f64_e32 v[26:27], v[26:27], v[200:201]
	s_delay_alu instid0(VALU_DEP_2) | instskip(NEXT) | instid1(VALU_DEP_2)
	v_add_f64_e32 v[4:5], v[4:5], v[202:203]
	v_add_f64_e32 v[26:27], v[26:27], v[204:205]
	s_delay_alu instid0(VALU_DEP_2) | instskip(NEXT) | instid1(VALU_DEP_2)
	v_add_f64_e32 v[4:5], v[4:5], v[206:207]
	;; [unrolled: 3-line block ×10, first 2 shown]
	v_add_f64_e32 v[28:29], v[28:29], v[238:239]
	ds_store_b128 v255, v[0:3] offset:3744
	ds_store_b128 v255, v[34:37] offset:5616
	;; [unrolled: 1-line block ×12, first 2 shown]
	ds_store_b128 v255, v[26:29]
	global_wb scope:SCOPE_SE
	s_wait_storecnt_dscnt 0x0
	s_barrier_signal -1
	s_barrier_wait -1
	global_inv scope:SCOPE_SE
	scratch_load_b64 v[0:1], off, off offset:328 th:TH_LOAD_LU ; 8-byte Folded Reload
	s_wait_loadcnt 0x0
	global_load_b128 v[0:3], v[0:1], off offset:24336
	ds_load_b128 v[4:7], v255
	ds_load_b128 v[8:11], v255 offset:1872
	s_wait_loadcnt_dscnt 0x1
	v_mul_f64_e32 v[12:13], v[6:7], v[2:3]
	v_mul_f64_e32 v[2:3], v[4:5], v[2:3]
	s_delay_alu instid0(VALU_DEP_2) | instskip(NEXT) | instid1(VALU_DEP_2)
	v_fma_f64 v[188:189], v[4:5], v[0:1], -v[12:13]
	v_fma_f64 v[190:191], v[6:7], v[0:1], v[2:3]
	global_load_b128 v[0:3], v255, s[8:9] offset:1872
	ds_load_b128 v[4:7], v255 offset:22464
	s_wait_loadcnt_dscnt 0x1
	v_mul_f64_e32 v[12:13], v[10:11], v[2:3]
	v_mul_f64_e32 v[2:3], v[8:9], v[2:3]
	s_delay_alu instid0(VALU_DEP_2) | instskip(NEXT) | instid1(VALU_DEP_2)
	v_fma_f64 v[8:9], v[8:9], v[0:1], -v[12:13]
	v_fma_f64 v[10:11], v[10:11], v[0:1], v[2:3]
	s_clause 0x1
	global_load_b128 v[0:3], v255, s[8:9] offset:3744
	global_load_b128 v[12:15], v255, s[8:9] offset:5616
	ds_load_b128 v[16:19], v255 offset:3744
	ds_load_b128 v[20:23], v255 offset:5616
	s_wait_loadcnt_dscnt 0x101
	v_mul_f64_e32 v[24:25], v[18:19], v[2:3]
	v_mul_f64_e32 v[2:3], v[16:17], v[2:3]
	s_delay_alu instid0(VALU_DEP_2) | instskip(NEXT) | instid1(VALU_DEP_2)
	v_fma_f64 v[16:17], v[16:17], v[0:1], -v[24:25]
	v_fma_f64 v[18:19], v[18:19], v[0:1], v[2:3]
	s_wait_loadcnt_dscnt 0x0
	v_mul_f64_e32 v[0:1], v[22:23], v[14:15]
	v_mul_f64_e32 v[2:3], v[20:21], v[14:15]
	s_delay_alu instid0(VALU_DEP_2) | instskip(NEXT) | instid1(VALU_DEP_2)
	v_fma_f64 v[0:1], v[20:21], v[12:13], -v[0:1]
	v_fma_f64 v[2:3], v[22:23], v[12:13], v[2:3]
	s_clause 0x1
	global_load_b128 v[12:15], v255, s[8:9] offset:7488
	global_load_b128 v[20:23], v255, s[8:9] offset:9360
	ds_load_b128 v[24:27], v255 offset:7488
	ds_load_b128 v[28:31], v255 offset:9360
	s_wait_loadcnt_dscnt 0x101
	v_mul_f64_e32 v[32:33], v[26:27], v[14:15]
	v_mul_f64_e32 v[14:15], v[24:25], v[14:15]
	s_delay_alu instid0(VALU_DEP_2) | instskip(NEXT) | instid1(VALU_DEP_2)
	v_fma_f64 v[24:25], v[24:25], v[12:13], -v[32:33]
	v_fma_f64 v[26:27], v[26:27], v[12:13], v[14:15]
	;; [unrolled: 17-line block ×5, first 2 shown]
	s_wait_loadcnt_dscnt 0x0
	v_mul_f64_e32 v[36:37], v[54:55], v[46:47]
	v_mul_f64_e32 v[38:39], v[52:53], v[46:47]
	s_delay_alu instid0(VALU_DEP_2) | instskip(NEXT) | instid1(VALU_DEP_2)
	v_fma_f64 v[36:37], v[52:53], v[44:45], -v[36:37]
	v_fma_f64 v[38:39], v[54:55], v[44:45], v[38:39]
	global_load_b128 v[44:47], v255, s[8:9] offset:22464
	s_wait_loadcnt 0x0
	v_mul_f64_e32 v[52:53], v[6:7], v[46:47]
	v_mul_f64_e32 v[46:47], v[4:5], v[46:47]
	s_delay_alu instid0(VALU_DEP_2) | instskip(NEXT) | instid1(VALU_DEP_2)
	v_fma_f64 v[4:5], v[4:5], v[44:45], -v[52:53]
	v_fma_f64 v[6:7], v[6:7], v[44:45], v[46:47]
	ds_store_b128 v255, v[188:191]
	ds_store_b128 v255, v[8:11] offset:1872
	ds_store_b128 v255, v[16:19] offset:3744
	;; [unrolled: 1-line block ×12, first 2 shown]
	global_wb scope:SCOPE_SE
	s_wait_dscnt 0x0
	s_barrier_signal -1
	s_barrier_wait -1
	global_inv scope:SCOPE_SE
	ds_load_b128 v[188:191], v255
	ds_load_b128 v[192:195], v255 offset:1872
	ds_load_b128 v[196:199], v255 offset:3744
	;; [unrolled: 1-line block ×9, first 2 shown]
	s_wait_dscnt 0x8
	v_add_f64_e32 v[0:1], v[188:189], v[192:193]
	v_add_f64_e32 v[2:3], v[190:191], v[194:195]
	s_wait_dscnt 0x1
	v_add_f64_e32 v[44:45], v[210:211], v[10:11]
	v_add_f64_e64 v[46:47], v[210:211], -v[10:11]
	s_wait_dscnt 0x0
	v_add_f64_e32 v[48:49], v[206:207], v[14:15]
	v_add_f64_e64 v[54:55], v[206:207], -v[14:15]
	v_add_f64_e32 v[40:41], v[214:215], v[218:219]
	v_add_f64_e64 v[42:43], v[214:215], -v[218:219]
	v_add_f64_e32 v[0:1], v[0:1], v[196:197]
	v_add_f64_e32 v[2:3], v[2:3], v[198:199]
	s_delay_alu instid0(VALU_DEP_2) | instskip(NEXT) | instid1(VALU_DEP_2)
	v_add_f64_e32 v[0:1], v[0:1], v[200:201]
	v_add_f64_e32 v[2:3], v[2:3], v[202:203]
	s_delay_alu instid0(VALU_DEP_2) | instskip(NEXT) | instid1(VALU_DEP_2)
	;; [unrolled: 3-line block ×4, first 2 shown]
	v_add_f64_e32 v[4:5], v[0:1], v[212:213]
	v_add_f64_e32 v[6:7], v[2:3], v[214:215]
	v_add_f64_e32 v[0:1], v[212:213], v[216:217]
	v_add_f64_e64 v[2:3], v[212:213], -v[216:217]
	s_delay_alu instid0(VALU_DEP_4) | instskip(NEXT) | instid1(VALU_DEP_4)
	v_add_f64_e32 v[16:17], v[4:5], v[216:217]
	v_add_f64_e32 v[18:19], v[6:7], v[218:219]
	v_add_f64_e32 v[4:5], v[208:209], v[8:9]
	v_add_f64_e64 v[6:7], v[208:209], -v[8:9]
	s_delay_alu instid0(VALU_DEP_4) | instskip(NEXT) | instid1(VALU_DEP_4)
	;; [unrolled: 5-line block ×3, first 2 shown]
	v_add_f64_e32 v[24:25], v[16:17], v[12:13]
	v_add_f64_e32 v[26:27], v[18:19], v[14:15]
	ds_load_b128 v[16:19], v255 offset:18720
	ds_load_b128 v[20:23], v255 offset:20592
	s_wait_dscnt 0x1
	v_add_f64_e32 v[12:13], v[200:201], v[16:17]
	v_add_f64_e32 v[204:205], v[202:203], v[18:19]
	v_add_f64_e64 v[14:15], v[200:201], -v[16:17]
	v_add_f64_e64 v[200:201], v[202:203], -v[18:19]
	s_wait_dscnt 0x0
	v_add_f64_e32 v[202:203], v[198:199], v[22:23]
	v_add_f64_e64 v[206:207], v[198:199], -v[22:23]
	v_add_f64_e32 v[24:25], v[24:25], v[16:17]
	v_add_f64_e32 v[26:27], v[26:27], v[18:19]
	;; [unrolled: 1-line block ×3, first 2 shown]
	v_add_f64_e64 v[18:19], v[196:197], -v[20:21]
	s_delay_alu instid0(VALU_DEP_4) | instskip(NEXT) | instid1(VALU_DEP_4)
	v_add_f64_e32 v[24:25], v[24:25], v[20:21]
	v_add_f64_e32 v[26:27], v[26:27], v[22:23]
	ds_load_b128 v[20:23], v255 offset:22464
	global_wb scope:SCOPE_SE
	s_wait_dscnt 0x0
	s_barrier_signal -1
	s_barrier_wait -1
	global_inv scope:SCOPE_SE
	v_add_f64_e64 v[28:29], v[194:195], -v[22:23]
	v_add_f64_e32 v[30:31], v[192:193], v[20:21]
	v_add_f64_e64 v[34:35], v[192:193], -v[20:21]
	v_add_f64_e32 v[32:33], v[194:195], v[22:23]
	v_add_f64_e32 v[192:193], v[24:25], v[20:21]
	;; [unrolled: 1-line block ×3, first 2 shown]
	v_mul_f64_e32 v[24:25], s[20:21], v[28:29]
	v_mul_f64_e32 v[20:21], s[30:31], v[28:29]
	v_mul_f64_e32 v[22:23], s[18:19], v[28:29]
	v_mul_f64_e32 v[26:27], s[14:15], v[28:29]
	v_mul_f64_e32 v[36:37], s[10:11], v[28:29]
	v_mul_f64_e32 v[28:29], s[2:3], v[28:29]
	v_mul_f64_e32 v[64:65], s[26:27], v[32:33]
	v_mul_f64_e32 v[66:67], s[22:23], v[32:33]
	v_mul_f64_e32 v[68:69], s[16:17], v[32:33]
	v_fma_f64 v[56:57], v[30:31], s[26:27], v[24:25]
	v_fma_f64 v[24:25], v[30:31], s[26:27], -v[24:25]
	v_fma_f64 v[38:39], v[30:31], s[28:29], v[20:21]
	v_fma_f64 v[20:21], v[30:31], s[28:29], -v[20:21]
	;; [unrolled: 2-line block ×6, first 2 shown]
	v_mul_f64_e32 v[22:23], s[28:29], v[32:33]
	v_mul_f64_e32 v[30:31], s[24:25], v[32:33]
	;; [unrolled: 1-line block ×3, first 2 shown]
	v_fma_f64 v[74:75], v[34:35], s[34:35], v[64:65]
	v_fma_f64 v[64:65], v[34:35], s[20:21], v[64:65]
	;; [unrolled: 1-line block ×6, first 2 shown]
	v_add_f64_e32 v[218:219], v[188:189], v[56:57]
	v_add_f64_e32 v[220:221], v[188:189], v[24:25]
	v_mul_f64_e32 v[24:25], s[18:19], v[206:207]
	v_add_f64_e32 v[20:21], v[188:189], v[20:21]
	v_add_f64_e32 v[214:215], v[188:189], v[52:53]
	;; [unrolled: 1-line block ×8, first 2 shown]
	v_fma_f64 v[70:71], v[34:35], s[36:37], v[22:23]
	v_fma_f64 v[22:23], v[34:35], s[30:31], v[22:23]
	;; [unrolled: 1-line block ×6, first 2 shown]
	v_add_f64_e32 v[34:35], v[188:189], v[38:39]
	v_add_f64_e32 v[226:227], v[190:191], v[196:197]
	;; [unrolled: 1-line block ×7, first 2 shown]
	v_fma_f64 v[26:27], v[16:17], s[24:25], v[24:25]
	v_add_f64_e32 v[38:39], v[190:191], v[70:71]
	v_add_f64_e32 v[70:71], v[188:189], v[50:51]
	;; [unrolled: 1-line block ×7, first 2 shown]
	v_mul_f64_e32 v[190:191], s[14:15], v[206:207]
	v_add_f64_e32 v[30:31], v[26:27], v[34:35]
	v_mul_f64_e32 v[26:27], s[24:25], v[202:203]
	s_delay_alu instid0(VALU_DEP_1) | instskip(NEXT) | instid1(VALU_DEP_1)
	v_fma_f64 v[28:29], v[18:19], s[42:43], v[26:27]
	v_add_f64_e32 v[32:33], v[28:29], v[38:39]
	v_mul_f64_e32 v[28:29], s[20:21], v[200:201]
	s_delay_alu instid0(VALU_DEP_1) | instskip(NEXT) | instid1(VALU_DEP_1)
	v_fma_f64 v[34:35], v[12:13], s[26:27], v[28:29]
	;; [unrolled: 4-line block ×9, first 2 shown]
	v_add_f64_e32 v[198:199], v[62:63], v[60:61]
	v_fma_f64 v[60:61], v[16:17], s[22:23], v[190:191]
	v_fma_f64 v[190:191], v[16:17], s[22:23], -v[190:191]
	s_delay_alu instid0(VALU_DEP_2) | instskip(SKIP_1) | instid1(VALU_DEP_3)
	v_add_f64_e32 v[60:61], v[60:61], v[70:71]
	v_mul_f64_e32 v[70:71], s[22:23], v[202:203]
	v_add_f64_e32 v[190:191], v[190:191], v[214:215]
	s_delay_alu instid0(VALU_DEP_2) | instskip(SKIP_1) | instid1(VALU_DEP_2)
	v_fma_f64 v[62:63], v[18:19], s[40:41], v[70:71]
	v_fma_f64 v[70:71], v[18:19], s[14:15], v[70:71]
	v_add_f64_e32 v[62:63], v[62:63], v[72:73]
	v_mul_f64_e32 v[72:73], s[2:3], v[200:201]
	s_delay_alu instid0(VALU_DEP_3) | instskip(NEXT) | instid1(VALU_DEP_2)
	v_add_f64_e32 v[70:71], v[70:71], v[216:217]
	v_fma_f64 v[212:213], v[12:13], s[12:13], v[72:73]
	v_fma_f64 v[72:73], v[12:13], s[12:13], -v[72:73]
	s_delay_alu instid0(VALU_DEP_2) | instskip(SKIP_1) | instid1(VALU_DEP_3)
	v_add_f64_e32 v[60:61], v[212:213], v[60:61]
	v_mul_f64_e32 v[212:213], s[12:13], v[204:205]
	v_add_f64_e32 v[72:73], v[72:73], v[190:191]
	s_delay_alu instid0(VALU_DEP_2) | instskip(SKIP_1) | instid1(VALU_DEP_2)
	v_fma_f64 v[222:223], v[14:15], s[44:45], v[212:213]
	v_fma_f64 v[190:191], v[14:15], s[2:3], v[212:213]
	v_add_f64_e32 v[62:63], v[222:223], v[62:63]
	v_mul_f64_e32 v[222:223], s[38:39], v[54:55]
	s_delay_alu instid0(VALU_DEP_3) | instskip(NEXT) | instid1(VALU_DEP_2)
	v_add_f64_e32 v[70:71], v[190:191], v[70:71]
	v_fma_f64 v[230:231], v[8:9], s[16:17], v[222:223]
	v_fma_f64 v[190:191], v[8:9], s[16:17], -v[222:223]
	v_mul_f64_e32 v[222:223], s[40:41], v[200:201]
	s_delay_alu instid0(VALU_DEP_3) | instskip(SKIP_1) | instid1(VALU_DEP_4)
	v_add_f64_e32 v[60:61], v[230:231], v[60:61]
	v_mul_f64_e32 v[230:231], s[16:17], v[48:49]
	v_add_f64_e32 v[72:73], v[190:191], v[72:73]
	s_delay_alu instid0(VALU_DEP_2) | instskip(SKIP_2) | instid1(VALU_DEP_3)
	v_fma_f64 v[236:237], v[10:11], s[10:11], v[230:231]
	v_fma_f64 v[190:191], v[10:11], s[38:39], v[230:231]
	v_mul_f64_e32 v[230:231], s[22:23], v[204:205]
	v_add_f64_e32 v[62:63], v[236:237], v[62:63]
	v_mul_f64_e32 v[236:237], s[34:35], v[46:47]
	s_delay_alu instid0(VALU_DEP_4) | instskip(NEXT) | instid1(VALU_DEP_2)
	v_add_f64_e32 v[70:71], v[190:191], v[70:71]
	v_fma_f64 v[238:239], v[4:5], s[26:27], v[236:237]
	v_fma_f64 v[190:191], v[4:5], s[26:27], -v[236:237]
	v_mul_f64_e32 v[236:237], s[36:37], v[54:55]
	s_delay_alu instid0(VALU_DEP_3) | instskip(SKIP_1) | instid1(VALU_DEP_4)
	v_add_f64_e32 v[60:61], v[238:239], v[60:61]
	v_mul_f64_e32 v[238:239], s[26:27], v[44:45]
	v_add_f64_e32 v[72:73], v[190:191], v[72:73]
	s_delay_alu instid0(VALU_DEP_2) | instskip(SKIP_2) | instid1(VALU_DEP_3)
	v_fma_f64 v[241:242], v[6:7], s[20:21], v[238:239]
	v_fma_f64 v[190:191], v[6:7], s[34:35], v[238:239]
	v_mul_f64_e32 v[238:239], s[28:29], v[48:49]
	v_add_f64_e32 v[62:63], v[241:242], v[62:63]
	v_mul_f64_e32 v[241:242], s[36:37], v[42:43]
	s_delay_alu instid0(VALU_DEP_4) | instskip(NEXT) | instid1(VALU_DEP_2)
	v_add_f64_e32 v[70:71], v[190:191], v[70:71]
	v_fma_f64 v[243:244], v[0:1], s[28:29], v[241:242]
	v_fma_f64 v[190:191], v[0:1], s[28:29], -v[241:242]
	v_mul_f64_e32 v[241:242], s[18:19], v[46:47]
	s_delay_alu instid0(VALU_DEP_3) | instskip(SKIP_1) | instid1(VALU_DEP_4)
	v_add_f64_e32 v[60:61], v[243:244], v[60:61]
	v_mul_f64_e32 v[243:244], s[28:29], v[40:41]
	v_add_f64_e32 v[212:213], v[190:191], v[72:73]
	v_mul_f64_e32 v[190:191], s[12:13], v[202:203]
	s_delay_alu instid0(VALU_DEP_3) | instskip(SKIP_1) | instid1(VALU_DEP_3)
	v_fma_f64 v[214:215], v[2:3], s[36:37], v[243:244]
	v_fma_f64 v[245:246], v[2:3], s[30:31], v[243:244]
	;; [unrolled: 1-line block ×3, first 2 shown]
	v_mul_f64_e32 v[243:244], s[24:25], v[44:45]
	s_delay_alu instid0(VALU_DEP_4) | instskip(SKIP_1) | instid1(VALU_DEP_4)
	v_add_f64_e32 v[214:215], v[214:215], v[70:71]
	v_mul_f64_e32 v[70:71], s[2:3], v[206:207]
	v_add_f64_e32 v[74:75], v[216:217], v[74:75]
	v_fma_f64 v[216:217], v[12:13], s[22:23], v[222:223]
	v_add_f64_e32 v[62:63], v[245:246], v[62:63]
	v_mul_f64_e32 v[245:246], s[10:11], v[42:43]
	v_fma_f64 v[72:73], v[16:17], s[12:13], v[70:71]
	v_fma_f64 v[70:71], v[16:17], s[12:13], -v[70:71]
	s_delay_alu instid0(VALU_DEP_2) | instskip(NEXT) | instid1(VALU_DEP_2)
	v_add_f64_e32 v[72:73], v[72:73], v[218:219]
	v_add_f64_e32 v[70:71], v[70:71], v[220:221]
	s_delay_alu instid0(VALU_DEP_2) | instskip(SKIP_1) | instid1(VALU_DEP_1)
	v_add_f64_e32 v[72:73], v[216:217], v[72:73]
	v_fma_f64 v[216:217], v[14:15], s[14:15], v[230:231]
	v_add_f64_e32 v[74:75], v[216:217], v[74:75]
	v_fma_f64 v[216:217], v[8:9], s[28:29], v[236:237]
	s_delay_alu instid0(VALU_DEP_1) | instskip(SKIP_1) | instid1(VALU_DEP_1)
	v_add_f64_e32 v[72:73], v[216:217], v[72:73]
	v_fma_f64 v[216:217], v[10:11], s[30:31], v[238:239]
	v_add_f64_e32 v[74:75], v[216:217], v[74:75]
	v_fma_f64 v[216:217], v[4:5], s[24:25], v[241:242]
	s_delay_alu instid0(VALU_DEP_1) | instskip(SKIP_1) | instid1(VALU_DEP_1)
	;; [unrolled: 5-line block ×3, first 2 shown]
	v_add_f64_e32 v[216:217], v[216:217], v[72:73]
	v_mul_f64_e32 v[72:73], s[16:17], v[40:41]
	v_fma_f64 v[218:219], v[2:3], s[38:39], v[72:73]
	v_fma_f64 v[72:73], v[2:3], s[10:11], v[72:73]
	s_delay_alu instid0(VALU_DEP_2) | instskip(SKIP_2) | instid1(VALU_DEP_2)
	v_add_f64_e32 v[218:219], v[218:219], v[74:75]
	v_fma_f64 v[74:75], v[18:19], s[2:3], v[190:191]
	v_mul_f64_e32 v[190:191], s[36:37], v[200:201]
	v_add_f64_e32 v[64:65], v[74:75], v[64:65]
	v_fma_f64 v[74:75], v[12:13], s[22:23], -v[222:223]
	s_delay_alu instid0(VALU_DEP_1) | instskip(SKIP_2) | instid1(VALU_DEP_2)
	v_add_f64_e32 v[70:71], v[74:75], v[70:71]
	v_fma_f64 v[74:75], v[14:15], s[40:41], v[230:231]
	v_mul_f64_e32 v[230:231], s[28:29], v[204:205]
	v_add_f64_e32 v[64:65], v[74:75], v[64:65]
	v_fma_f64 v[74:75], v[8:9], s[28:29], -v[236:237]
	v_mul_f64_e32 v[236:237], s[20:21], v[54:55]
	s_delay_alu instid0(VALU_DEP_2) | instskip(SKIP_2) | instid1(VALU_DEP_2)
	v_add_f64_e32 v[70:71], v[74:75], v[70:71]
	v_fma_f64 v[74:75], v[10:11], s[36:37], v[238:239]
	v_mul_f64_e32 v[238:239], s[26:27], v[48:49]
	v_add_f64_e32 v[64:65], v[74:75], v[64:65]
	v_fma_f64 v[74:75], v[4:5], s[24:25], -v[241:242]
	v_mul_f64_e32 v[241:242], s[44:45], v[46:47]
	s_delay_alu instid0(VALU_DEP_2) | instskip(SKIP_2) | instid1(VALU_DEP_2)
	v_add_f64_e32 v[70:71], v[74:75], v[70:71]
	v_fma_f64 v[74:75], v[6:7], s[18:19], v[243:244]
	v_mul_f64_e32 v[243:244], s[12:13], v[44:45]
	v_add_f64_e32 v[64:65], v[74:75], v[64:65]
	v_fma_f64 v[74:75], v[0:1], s[16:17], -v[245:246]
	v_mul_f64_e32 v[245:246], s[42:43], v[42:43]
	s_delay_alu instid0(VALU_DEP_3) | instskip(SKIP_1) | instid1(VALU_DEP_4)
	v_add_f64_e32 v[222:223], v[72:73], v[64:65]
	v_mul_f64_e32 v[64:65], s[38:39], v[206:207]
	v_add_f64_e32 v[220:221], v[74:75], v[70:71]
	v_mul_f64_e32 v[72:73], s[16:17], v[202:203]
	s_delay_alu instid0(VALU_DEP_3) | instskip(SKIP_1) | instid1(VALU_DEP_3)
	v_fma_f64 v[70:71], v[16:17], s[16:17], v[64:65]
	v_fma_f64 v[64:65], v[16:17], s[16:17], -v[64:65]
	v_fma_f64 v[74:75], v[18:19], s[10:11], v[72:73]
	v_fma_f64 v[72:73], v[18:19], s[38:39], v[72:73]
	s_delay_alu instid0(VALU_DEP_4) | instskip(SKIP_1) | instid1(VALU_DEP_4)
	v_add_f64_e32 v[70:71], v[70:71], v[224:225]
	v_fma_f64 v[224:225], v[12:13], s[28:29], v[190:191]
	v_add_f64_e32 v[74:75], v[74:75], v[226:227]
	v_add_f64_e32 v[64:65], v[64:65], v[228:229]
	v_add_f64_e32 v[66:67], v[72:73], v[66:67]
	v_fma_f64 v[72:73], v[12:13], s[28:29], -v[190:191]
	v_add_f64_e32 v[70:71], v[224:225], v[70:71]
	v_fma_f64 v[224:225], v[14:15], s[30:31], v[230:231]
	s_delay_alu instid0(VALU_DEP_3) | instskip(SKIP_1) | instid1(VALU_DEP_3)
	v_add_f64_e32 v[64:65], v[72:73], v[64:65]
	v_fma_f64 v[72:73], v[14:15], s[36:37], v[230:231]
	v_add_f64_e32 v[74:75], v[224:225], v[74:75]
	v_fma_f64 v[224:225], v[8:9], s[26:27], v[236:237]
	s_delay_alu instid0(VALU_DEP_3)
	v_add_f64_e32 v[66:67], v[72:73], v[66:67]
	v_fma_f64 v[72:73], v[8:9], s[26:27], -v[236:237]
	v_mul_f64_e32 v[236:237], s[44:45], v[54:55]
	v_mul_f64_e32 v[54:55], s[42:43], v[54:55]
	v_add_f64_e32 v[70:71], v[224:225], v[70:71]
	v_fma_f64 v[224:225], v[10:11], s[34:35], v[238:239]
	v_add_f64_e32 v[64:65], v[72:73], v[64:65]
	v_fma_f64 v[72:73], v[10:11], s[20:21], v[238:239]
	v_mul_f64_e32 v[238:239], s[12:13], v[48:49]
	v_mul_f64_e32 v[48:49], s[24:25], v[48:49]
	v_add_f64_e32 v[74:75], v[224:225], v[74:75]
	v_fma_f64 v[224:225], v[4:5], s[12:13], v[241:242]
	v_add_f64_e32 v[66:67], v[72:73], v[66:67]
	v_fma_f64 v[72:73], v[4:5], s[12:13], -v[241:242]
	v_mul_f64_e32 v[241:242], s[36:37], v[46:47]
	v_mul_f64_e32 v[46:47], s[14:15], v[46:47]
	v_add_f64_e32 v[70:71], v[224:225], v[70:71]
	v_fma_f64 v[224:225], v[6:7], s[2:3], v[243:244]
	v_add_f64_e32 v[64:65], v[72:73], v[64:65]
	v_fma_f64 v[72:73], v[6:7], s[44:45], v[243:244]
	v_mul_f64_e32 v[243:244], s[28:29], v[44:45]
	v_mul_f64_e32 v[44:45], s[22:23], v[44:45]
	v_add_f64_e32 v[74:75], v[224:225], v[74:75]
	v_fma_f64 v[224:225], v[0:1], s[24:25], v[245:246]
	v_add_f64_e32 v[66:67], v[72:73], v[66:67]
	v_fma_f64 v[72:73], v[0:1], s[24:25], -v[245:246]
	v_mul_f64_e32 v[245:246], s[14:15], v[42:43]
	s_delay_alu instid0(VALU_DEP_4) | instskip(SKIP_1) | instid1(VALU_DEP_4)
	v_add_f64_e32 v[224:225], v[224:225], v[70:71]
	v_mul_f64_e32 v[70:71], s[24:25], v[40:41]
	v_add_f64_e32 v[228:229], v[72:73], v[64:65]
	v_mul_f64_e32 v[64:65], s[34:35], v[206:207]
	s_delay_alu instid0(VALU_DEP_3) | instskip(SKIP_1) | instid1(VALU_DEP_2)
	v_fma_f64 v[226:227], v[2:3], s[18:19], v[70:71]
	v_fma_f64 v[70:71], v[2:3], s[42:43], v[70:71]
	v_add_f64_e32 v[226:227], v[226:227], v[74:75]
	s_delay_alu instid0(VALU_DEP_2) | instskip(SKIP_4) | instid1(VALU_DEP_4)
	v_add_f64_e32 v[230:231], v[70:71], v[66:67]
	v_fma_f64 v[66:67], v[16:17], s[26:27], v[64:65]
	v_mul_f64_e32 v[74:75], s[18:19], v[200:201]
	v_mul_f64_e32 v[70:71], s[26:27], v[202:203]
	v_fma_f64 v[64:65], v[16:17], s[26:27], -v[64:65]
	v_add_f64_e32 v[66:67], v[66:67], v[232:233]
	s_delay_alu instid0(VALU_DEP_4) | instskip(NEXT) | instid1(VALU_DEP_4)
	v_fma_f64 v[190:191], v[12:13], s[24:25], v[74:75]
	v_fma_f64 v[72:73], v[18:19], s[20:21], v[70:71]
	s_delay_alu instid0(VALU_DEP_4) | instskip(SKIP_1) | instid1(VALU_DEP_4)
	v_add_f64_e32 v[64:65], v[64:65], v[210:211]
	v_fma_f64 v[70:71], v[18:19], s[34:35], v[70:71]
	v_add_f64_e32 v[66:67], v[190:191], v[66:67]
	v_mul_f64_e32 v[190:191], s[24:25], v[204:205]
	v_add_f64_e32 v[72:73], v[72:73], v[234:235]
	s_delay_alu instid0(VALU_DEP_4) | instskip(NEXT) | instid1(VALU_DEP_3)
	v_add_f64_e32 v[70:71], v[70:71], v[208:209]
	v_fma_f64 v[232:233], v[14:15], s[42:43], v[190:191]
	s_delay_alu instid0(VALU_DEP_1) | instskip(SKIP_1) | instid1(VALU_DEP_1)
	v_add_f64_e32 v[72:73], v[232:233], v[72:73]
	v_fma_f64 v[232:233], v[8:9], s[12:13], v[236:237]
	v_add_f64_e32 v[66:67], v[232:233], v[66:67]
	v_fma_f64 v[232:233], v[10:11], s[2:3], v[238:239]
	s_delay_alu instid0(VALU_DEP_1) | instskip(SKIP_1) | instid1(VALU_DEP_1)
	v_add_f64_e32 v[72:73], v[232:233], v[72:73]
	v_fma_f64 v[232:233], v[4:5], s[28:29], v[241:242]
	;; [unrolled: 5-line block ×3, first 2 shown]
	v_add_f64_e32 v[232:233], v[232:233], v[66:67]
	v_mul_f64_e32 v[66:67], s[22:23], v[40:41]
	s_delay_alu instid0(VALU_DEP_1) | instskip(SKIP_1) | instid1(VALU_DEP_2)
	v_fma_f64 v[234:235], v[2:3], s[40:41], v[66:67]
	v_fma_f64 v[66:67], v[2:3], s[14:15], v[66:67]
	v_add_f64_e32 v[234:235], v[234:235], v[72:73]
	v_fma_f64 v[72:73], v[12:13], s[24:25], -v[74:75]
	s_delay_alu instid0(VALU_DEP_1) | instskip(SKIP_2) | instid1(VALU_DEP_2)
	v_add_f64_e32 v[64:65], v[72:73], v[64:65]
	v_fma_f64 v[72:73], v[14:15], s[18:19], v[190:191]
	v_mul_f64_e32 v[190:191], s[26:27], v[40:41]
	v_add_f64_e32 v[70:71], v[72:73], v[70:71]
	v_fma_f64 v[72:73], v[8:9], s[12:13], -v[236:237]
	s_delay_alu instid0(VALU_DEP_1) | instskip(SKIP_1) | instid1(VALU_DEP_1)
	v_add_f64_e32 v[64:65], v[72:73], v[64:65]
	v_fma_f64 v[72:73], v[10:11], s[44:45], v[238:239]
	v_add_f64_e32 v[70:71], v[72:73], v[70:71]
	v_fma_f64 v[72:73], v[4:5], s[28:29], -v[241:242]
	s_delay_alu instid0(VALU_DEP_1) | instskip(SKIP_1) | instid1(VALU_DEP_1)
	v_add_f64_e32 v[64:65], v[72:73], v[64:65]
	v_fma_f64 v[72:73], v[6:7], s[36:37], v[243:244]
	v_add_f64_e32 v[70:71], v[72:73], v[70:71]
	v_fma_f64 v[72:73], v[0:1], s[22:23], -v[245:246]
	s_delay_alu instid0(VALU_DEP_2) | instskip(NEXT) | instid1(VALU_DEP_2)
	v_add_f64_e32 v[210:211], v[66:67], v[70:71]
	v_add_f64_e32 v[208:209], v[72:73], v[64:65]
	v_mul_f64_e32 v[64:65], s[36:37], v[206:207]
	s_delay_alu instid0(VALU_DEP_1) | instskip(NEXT) | instid1(VALU_DEP_1)
	v_fma_f64 v[66:67], v[16:17], s[28:29], v[64:65]
	v_add_f64_e32 v[58:59], v[66:67], v[58:59]
	v_mul_f64_e32 v[66:67], s[28:29], v[202:203]
	s_delay_alu instid0(VALU_DEP_1) | instskip(NEXT) | instid1(VALU_DEP_1)
	v_fma_f64 v[70:71], v[18:19], s[30:31], v[66:67]
	;; [unrolled: 4-line block ×4, first 2 shown]
	v_add_f64_e32 v[56:57], v[74:75], v[56:57]
	v_fma_f64 v[74:75], v[8:9], s[24:25], v[54:55]
	v_fma_f64 v[54:55], v[8:9], s[24:25], -v[54:55]
	v_fma_f64 v[8:9], v[8:9], s[22:23], -v[32:33]
	s_delay_alu instid0(VALU_DEP_3) | instskip(SKIP_3) | instid1(VALU_DEP_3)
	v_add_f64_e32 v[58:59], v[74:75], v[58:59]
	v_fma_f64 v[74:75], v[10:11], s[18:19], v[48:49]
	v_fma_f64 v[48:49], v[10:11], s[42:43], v[48:49]
	;; [unrolled: 1-line block ×3, first 2 shown]
	v_add_f64_e32 v[56:57], v[74:75], v[56:57]
	v_fma_f64 v[74:75], v[4:5], s[22:23], v[46:47]
	v_fma_f64 v[46:47], v[4:5], s[22:23], -v[46:47]
	v_fma_f64 v[4:5], v[4:5], s[16:17], -v[36:37]
	s_delay_alu instid0(VALU_DEP_3) | instskip(SKIP_3) | instid1(VALU_DEP_3)
	v_add_f64_e32 v[58:59], v[74:75], v[58:59]
	v_fma_f64 v[74:75], v[6:7], s[40:41], v[44:45]
	v_fma_f64 v[44:45], v[6:7], s[14:15], v[44:45]
	;; [unrolled: 1-line block ×3, first 2 shown]
	v_add_f64_e32 v[56:57], v[74:75], v[56:57]
	v_mul_f64_e32 v[74:75], s[34:35], v[42:43]
	v_fma_f64 v[42:43], v[2:3], s[20:21], v[190:191]
	s_delay_alu instid0(VALU_DEP_2) | instskip(NEXT) | instid1(VALU_DEP_2)
	v_fma_f64 v[40:41], v[0:1], s[26:27], v[74:75]
	v_add_f64_e32 v[42:43], v[42:43], v[56:57]
	v_fma_f64 v[56:57], v[16:17], s[28:29], -v[64:65]
	v_fma_f64 v[16:17], v[16:17], s[24:25], -v[24:25]
	s_delay_alu instid0(VALU_DEP_4) | instskip(NEXT) | instid1(VALU_DEP_3)
	v_add_f64_e32 v[40:41], v[40:41], v[58:59]
	v_add_f64_e32 v[52:53], v[56:57], v[52:53]
	v_fma_f64 v[56:57], v[18:19], s[36:37], v[66:67]
	v_fma_f64 v[18:19], v[18:19], s[18:19], v[26:27]
	v_add_f64_e32 v[16:17], v[16:17], v[20:21]
	s_delay_alu instid0(VALU_DEP_3) | instskip(SKIP_3) | instid1(VALU_DEP_3)
	v_add_f64_e32 v[50:51], v[56:57], v[50:51]
	v_fma_f64 v[56:57], v[12:13], s[16:17], -v[70:71]
	v_fma_f64 v[12:13], v[12:13], s[26:27], -v[28:29]
	v_add_f64_e32 v[18:19], v[18:19], v[22:23]
	v_add_f64_e32 v[52:53], v[56:57], v[52:53]
	v_fma_f64 v[56:57], v[14:15], s[10:11], v[72:73]
	v_fma_f64 v[14:15], v[14:15], s[20:21], v[30:31]
	v_add_f64_e32 v[12:13], v[12:13], v[16:17]
	s_delay_alu instid0(VALU_DEP_4) | instskip(NEXT) | instid1(VALU_DEP_4)
	v_add_f64_e32 v[52:53], v[54:55], v[52:53]
	v_add_f64_e32 v[50:51], v[56:57], v[50:51]
	s_delay_alu instid0(VALU_DEP_4) | instskip(NEXT) | instid1(VALU_DEP_4)
	v_add_f64_e32 v[14:15], v[14:15], v[18:19]
	;; [unrolled: 3-line block ×3, first 2 shown]
	v_add_f64_e32 v[48:49], v[48:49], v[50:51]
	s_delay_alu instid0(VALU_DEP_4)
	v_add_f64_e32 v[10:11], v[10:11], v[14:15]
	v_fma_f64 v[50:51], v[2:3], s[34:35], v[190:191]
	v_fma_f64 v[2:3], v[2:3], s[2:3], v[188:189]
	v_add_f64_e32 v[4:5], v[4:5], v[8:9]
	v_add_f64_e32 v[48:49], v[44:45], v[48:49]
	v_fma_f64 v[44:45], v[0:1], s[26:27], -v[74:75]
	v_fma_f64 v[0:1], v[0:1], s[12:13], -v[68:69]
	v_add_f64_e32 v[6:7], v[6:7], v[10:11]
	s_delay_alu instid0(VALU_DEP_3) | instskip(SKIP_1) | instid1(VALU_DEP_4)
	v_add_f64_e32 v[44:45], v[44:45], v[46:47]
	v_add_f64_e32 v[46:47], v[50:51], v[48:49]
	;; [unrolled: 1-line block ×3, first 2 shown]
	s_delay_alu instid0(VALU_DEP_4)
	v_add_f64_e32 v[190:191], v[2:3], v[6:7]
	ds_store_b128 v240, v[60:63] offset:32
	ds_store_b128 v240, v[216:219] offset:48
	;; [unrolled: 1-line block ×11, first 2 shown]
	ds_store_b128 v240, v[192:195]
	ds_store_b128 v240, v[188:191] offset:192
	global_wb scope:SCOPE_SE
	s_wait_dscnt 0x0
	s_barrier_signal -1
	s_barrier_wait -1
	global_inv scope:SCOPE_SE
	ds_load_b128 v[204:207], v255
	ds_load_b128 v[200:203], v255 offset:1872
	ds_load_b128 v[236:239], v255 offset:8112
	;; [unrolled: 1-line block ×11, first 2 shown]
	s_and_saveexec_b32 s2, vcc_lo
	s_cbranch_execz .LBB0_11
; %bb.10:
	ds_load_b128 v[188:191], v255 offset:7488
	ds_load_b128 v[180:183], v255 offset:15600
	;; [unrolled: 1-line block ×3, first 2 shown]
.LBB0_11:
	s_wait_alu 0xfffe
	s_or_b32 exec_lo, exec_lo, s2
	s_clause 0x1
	scratch_load_b128 v[30:33], off, off offset:284 th:TH_LOAD_LU
	scratch_load_b128 v[38:41], off, off offset:264 th:TH_LOAD_LU
	s_wait_dscnt 0x8
	v_mul_f64_e32 v[8:9], v[94:95], v[222:223]
	s_clause 0x1
	scratch_load_b128 v[34:37], off, off offset:248 th:TH_LOAD_LU
	scratch_load_b128 v[42:45], off, off offset:232 th:TH_LOAD_LU
	v_mul_f64_e32 v[0:1], v[98:99], v[238:239]
	s_wait_dscnt 0x7
	v_mul_f64_e32 v[2:3], v[90:91], v[234:235]
	s_mov_b32 s2, 0xe8584caa
	s_mov_b32 s3, 0xbfebb67a
	;; [unrolled: 1-line block ×3, first 2 shown]
	s_wait_alu 0xfffe
	s_mov_b32 s8, s2
	global_wb scope:SCOPE_SE
	s_wait_loadcnt_dscnt 0x0
	s_barrier_signal -1
	s_barrier_wait -1
	global_inv scope:SCOPE_SE
	v_fma_f64 v[12:13], v[92:93], v[220:221], v[8:9]
	v_mul_f64_e32 v[8:9], v[94:95], v[220:221]
	v_fma_f64 v[4:5], v[96:97], v[236:237], v[0:1]
	v_mul_f64_e32 v[0:1], v[98:99], v[236:237]
	;; [unrolled: 2-line block ×3, first 2 shown]
	v_fma_f64 v[14:15], v[92:93], v[222:223], -v[8:9]
	v_mul_f64_e32 v[8:9], v[86:87], v[218:219]
	v_add_f64_e32 v[46:47], v[204:205], v[4:5]
	v_fma_f64 v[0:1], v[96:97], v[238:239], -v[0:1]
	v_fma_f64 v[2:3], v[88:89], v[234:235], -v[2:3]
	s_delay_alu instid0(VALU_DEP_4) | instskip(SKIP_1) | instid1(VALU_DEP_3)
	v_fma_f64 v[16:17], v[84:85], v[216:217], v[8:9]
	v_mul_f64_e32 v[8:9], v[86:87], v[216:217]
	v_add_f64_e32 v[10:11], v[0:1], v[2:3]
	v_add_f64_e64 v[48:49], v[0:1], -v[2:3]
	s_delay_alu instid0(VALU_DEP_3) | instskip(SKIP_1) | instid1(VALU_DEP_4)
	v_fma_f64 v[18:19], v[84:85], v[218:219], -v[8:9]
	v_mul_f64_e32 v[8:9], v[82:83], v[230:231]
	v_fma_f64 v[10:11], v[10:11], -0.5, v[206:207]
	s_delay_alu instid0(VALU_DEP_2) | instskip(SKIP_1) | instid1(VALU_DEP_1)
	v_fma_f64 v[20:21], v[80:81], v[228:229], v[8:9]
	v_mul_f64_e32 v[8:9], v[82:83], v[228:229]
	v_fma_f64 v[22:23], v[80:81], v[230:231], -v[8:9]
	v_mul_f64_e32 v[8:9], v[78:79], v[226:227]
	s_delay_alu instid0(VALU_DEP_1) | instskip(SKIP_1) | instid1(VALU_DEP_1)
	v_fma_f64 v[24:25], v[76:77], v[224:225], v[8:9]
	v_mul_f64_e32 v[8:9], v[78:79], v[224:225]
	v_fma_f64 v[26:27], v[76:77], v[226:227], -v[8:9]
	v_mul_f64_e32 v[8:9], v[32:33], v[214:215]
	s_delay_alu instid0(VALU_DEP_1) | instskip(SKIP_1) | instid1(VALU_DEP_1)
	v_fma_f64 v[28:29], v[30:31], v[212:213], v[8:9]
	v_mul_f64_e32 v[8:9], v[32:33], v[212:213]
	v_fma_f64 v[30:31], v[30:31], v[214:215], -v[8:9]
	v_mul_f64_e32 v[8:9], v[36:37], v[210:211]
	s_delay_alu instid0(VALU_DEP_1) | instskip(SKIP_1) | instid1(VALU_DEP_1)
	v_fma_f64 v[32:33], v[34:35], v[208:209], v[8:9]
	v_mul_f64_e32 v[8:9], v[36:37], v[208:209]
	v_fma_f64 v[34:35], v[34:35], v[210:211], -v[8:9]
	v_mul_f64_e32 v[8:9], v[40:41], v[182:183]
	s_delay_alu instid0(VALU_DEP_1) | instskip(SKIP_1) | instid1(VALU_DEP_2)
	v_fma_f64 v[36:37], v[38:39], v[180:181], v[8:9]
	v_mul_f64_e32 v[8:9], v[40:41], v[180:181]
	v_add_f64_e32 v[50:51], v[188:189], v[36:37]
	s_delay_alu instid0(VALU_DEP_2) | instskip(SKIP_1) | instid1(VALU_DEP_1)
	v_fma_f64 v[38:39], v[38:39], v[182:183], -v[8:9]
	v_mul_f64_e32 v[8:9], v[44:45], v[186:187]
	v_fma_f64 v[40:41], v[42:43], v[184:185], v[8:9]
	v_mul_f64_e32 v[8:9], v[44:45], v[184:185]
	v_add_f64_e32 v[44:45], v[206:207], v[0:1]
	v_add_f64_e32 v[0:1], v[46:47], v[6:7]
	s_delay_alu instid0(VALU_DEP_4) | instskip(NEXT) | instid1(VALU_DEP_4)
	v_add_f64_e32 v[60:61], v[50:51], v[40:41]
	v_fma_f64 v[42:43], v[42:43], v[186:187], -v[8:9]
	s_delay_alu instid0(VALU_DEP_4) | instskip(SKIP_3) | instid1(VALU_DEP_2)
	v_add_f64_e32 v[2:3], v[44:45], v[2:3]
	v_add_f64_e64 v[44:45], v[4:5], -v[6:7]
	v_add_f64_e32 v[8:9], v[4:5], v[6:7]
	s_wait_alu 0xfffe
	v_fma_f64 v[6:7], v[44:45], s[8:9], v[10:11]
	v_fma_f64 v[10:11], v[44:45], s[2:3], v[10:11]
	scratch_load_b32 v44, off, off offset:304 th:TH_LOAD_LU ; 4-byte Folded Reload
	v_fma_f64 v[8:9], v[8:9], -0.5, v[204:205]
	s_delay_alu instid0(VALU_DEP_1)
	v_fma_f64 v[4:5], v[48:49], s[2:3], v[8:9]
	v_fma_f64 v[8:9], v[48:49], s[8:9], v[8:9]
	v_add_f64_e32 v[48:49], v[192:193], v[28:29]
	s_wait_loadcnt 0x0
	ds_store_b128 v44, v[0:3]
	ds_store_b128 v44, v[4:7] offset:208
	ds_store_b128 v44, v[8:11] offset:416
	v_add_f64_e32 v[0:1], v[12:13], v[16:17]
	v_add_f64_e32 v[4:5], v[200:201], v[12:13]
	v_add_f64_e64 v[8:9], v[14:15], -v[18:19]
	v_add_f64_e64 v[12:13], v[12:13], -v[16:17]
	s_delay_alu instid0(VALU_DEP_4) | instskip(SKIP_1) | instid1(VALU_DEP_1)
	v_fma_f64 v[6:7], v[0:1], -0.5, v[200:201]
	v_add_f64_e32 v[0:1], v[14:15], v[18:19]
	v_fma_f64 v[10:11], v[0:1], -0.5, v[202:203]
	v_add_f64_e32 v[0:1], v[202:203], v[14:15]
	s_delay_alu instid0(VALU_DEP_1)
	v_add_f64_e32 v[2:3], v[0:1], v[18:19]
	v_add_f64_e32 v[0:1], v[4:5], v[16:17]
	v_fma_f64 v[4:5], v[8:9], s[2:3], v[6:7]
	v_fma_f64 v[8:9], v[8:9], s[8:9], v[6:7]
	;; [unrolled: 1-line block ×4, first 2 shown]
	v_add_f64_e32 v[12:13], v[20:21], v[24:25]
	v_add_f64_e32 v[16:17], v[196:197], v[20:21]
	s_delay_alu instid0(VALU_DEP_2) | instskip(SKIP_1) | instid1(VALU_DEP_1)
	v_fma_f64 v[18:19], v[12:13], -0.5, v[196:197]
	v_add_f64_e32 v[12:13], v[22:23], v[26:27]
	v_fma_f64 v[44:45], v[12:13], -0.5, v[198:199]
	v_add_f64_e32 v[12:13], v[198:199], v[22:23]
	v_add_f64_e64 v[22:23], v[22:23], -v[26:27]
	s_delay_alu instid0(VALU_DEP_2) | instskip(SKIP_2) | instid1(VALU_DEP_4)
	v_add_f64_e32 v[14:15], v[12:13], v[26:27]
	v_add_f64_e32 v[12:13], v[16:17], v[24:25]
	v_add_f64_e64 v[24:25], v[20:21], -v[24:25]
	v_fma_f64 v[16:17], v[22:23], s[2:3], v[18:19]
	v_fma_f64 v[20:21], v[22:23], s[8:9], v[18:19]
	s_delay_alu instid0(VALU_DEP_3) | instskip(SKIP_2) | instid1(VALU_DEP_1)
	v_fma_f64 v[18:19], v[24:25], s[8:9], v[44:45]
	v_fma_f64 v[22:23], v[24:25], s[2:3], v[44:45]
	v_add_f64_e32 v[24:25], v[28:29], v[32:33]
	v_fma_f64 v[44:45], v[24:25], -0.5, v[192:193]
	v_add_f64_e32 v[24:25], v[30:31], v[34:35]
	s_delay_alu instid0(VALU_DEP_1) | instskip(SKIP_2) | instid1(VALU_DEP_2)
	v_fma_f64 v[46:47], v[24:25], -0.5, v[194:195]
	v_add_f64_e32 v[24:25], v[194:195], v[30:31]
	v_add_f64_e64 v[30:31], v[30:31], -v[34:35]
	v_add_f64_e32 v[26:27], v[24:25], v[34:35]
	v_add_f64_e64 v[34:35], v[28:29], -v[32:33]
	v_add_f64_e32 v[24:25], v[48:49], v[32:33]
	s_delay_alu instid0(VALU_DEP_4)
	v_fma_f64 v[28:29], v[30:31], s[2:3], v[44:45]
	v_fma_f64 v[32:33], v[30:31], s[8:9], v[44:45]
	v_add_f64_e32 v[44:45], v[36:37], v[40:41]
	v_add_f64_e64 v[36:37], v[36:37], -v[40:41]
	v_add_f64_e32 v[48:49], v[190:191], v[38:39]
	v_fma_f64 v[30:31], v[34:35], s[8:9], v[46:47]
	v_fma_f64 v[34:35], v[34:35], s[2:3], v[46:47]
	v_add_f64_e32 v[46:47], v[38:39], v[42:43]
	v_add_f64_e64 v[38:39], v[38:39], -v[42:43]
	v_fma_f64 v[44:45], v[44:45], -0.5, v[188:189]
	v_add_f64_e32 v[62:63], v[48:49], v[42:43]
	s_delay_alu instid0(VALU_DEP_4) | instskip(NEXT) | instid1(VALU_DEP_3)
	v_fma_f64 v[46:47], v[46:47], -0.5, v[190:191]
	v_fma_f64 v[64:65], v[38:39], s[2:3], v[44:45]
	v_fma_f64 v[68:69], v[38:39], s[8:9], v[44:45]
	s_delay_alu instid0(VALU_DEP_3)
	v_fma_f64 v[66:67], v[36:37], s[8:9], v[46:47]
	v_fma_f64 v[70:71], v[36:37], s[2:3], v[46:47]
	scratch_load_b32 v36, off, off offset:300 th:TH_LOAD_LU ; 4-byte Folded Reload
	s_wait_loadcnt 0x0
	ds_store_b128 v36, v[0:3]
	ds_store_b128 v36, v[4:7] offset:208
	ds_store_b128 v36, v[8:11] offset:416
	scratch_load_b32 v0, off, off offset:280 th:TH_LOAD_LU ; 4-byte Folded Reload
	s_wait_loadcnt 0x0
	ds_store_b128 v0, v[12:15]
	ds_store_b128 v0, v[16:19] offset:208
	ds_store_b128 v0, v[20:23] offset:416
	;; [unrolled: 5-line block ×3, first 2 shown]
	s_and_saveexec_b32 s2, vcc_lo
	s_cbranch_execz .LBB0_13
; %bb.12:
	s_clause 0x1
	scratch_load_b32 v0, off, off offset:220 th:TH_LOAD_LU
	scratch_load_b32 v1, off, off offset:224 th:TH_LOAD_LU
	s_wait_loadcnt 0x0
	v_mad_u16 v0, v0, 39, v1
	s_delay_alu instid0(VALU_DEP_1) | instskip(NEXT) | instid1(VALU_DEP_1)
	v_and_b32_e32 v0, 0xffff, v0
	v_lshlrev_b32_e32 v0, 4, v0
	ds_store_b128 v0, v[60:63]
	ds_store_b128 v0, v[64:67] offset:208
	ds_store_b128 v0, v[68:71] offset:416
.LBB0_13:
	s_wait_alu 0xfffe
	s_or_b32 exec_lo, exec_lo, s2
	global_wb scope:SCOPE_SE
	s_wait_dscnt 0x0
	s_barrier_signal -1
	s_barrier_wait -1
	global_inv scope:SCOPE_SE
	ds_load_b128 v[80:83], v255
	ds_load_b128 v[76:79], v255 offset:1872
	ds_load_b128 v[184:187], v255 offset:8112
	;; [unrolled: 1-line block ×11, first 2 shown]
	s_mov_b32 s2, exec_lo
	scratch_load_b32 v200, off, off offset:56 ; 4-byte Folded Reload
	s_wait_alu 0xfffe
	s_and_b32 s3, s2, vcc_lo
	s_wait_alu 0xfffe
	s_mov_b32 exec_lo, s3
	s_cbranch_execz .LBB0_15
; %bb.14:
	ds_load_b128 v[60:63], v255 offset:7488
	ds_load_b128 v[64:67], v255 offset:15600
	;; [unrolled: 1-line block ×3, first 2 shown]
.LBB0_15:
	s_or_b32 exec_lo, exec_lo, s2
	s_wait_dscnt 0x9
	v_mul_f64_e32 v[0:1], v[146:147], v[186:187]
	s_wait_dscnt 0x7
	v_mul_f64_e32 v[2:3], v[142:143], v[194:195]
	global_wb scope:SCOPE_SE
	s_wait_loadcnt_dscnt 0x0
	s_barrier_signal -1
	s_barrier_wait -1
	global_inv scope:SCOPE_SE
	v_mul_f64_e32 v[4:5], v[146:147], v[184:185]
	v_mul_f64_e32 v[6:7], v[142:143], v[192:193]
	;; [unrolled: 1-line block ×10, first 2 shown]
	s_mov_b32 s2, 0xe8584caa
	s_mov_b32 s3, 0xbfebb67a
	s_wait_alu 0xfffe
	s_mov_b32 s8, s2
	v_mul_f64_e32 v[24:25], v[130:131], v[94:95]
	v_mul_f64_e32 v[26:27], v[122:123], v[182:183]
	;; [unrolled: 1-line block ×4, first 2 shown]
	v_fma_f64 v[0:1], v[144:145], v[184:185], v[0:1]
	v_fma_f64 v[2:3], v[140:141], v[192:193], v[2:3]
	v_fma_f64 v[4:5], v[144:145], v[186:187], -v[4:5]
	v_fma_f64 v[6:7], v[140:141], v[194:195], -v[6:7]
	v_fma_f64 v[8:9], v[132:133], v[88:89], v[8:9]
	v_fma_f64 v[10:11], v[136:137], v[96:97], v[10:11]
	;; [unrolled: 1-line block ×4, first 2 shown]
	v_fma_f64 v[12:13], v[132:133], v[90:91], -v[12:13]
	v_fma_f64 v[14:15], v[136:137], v[98:99], -v[14:15]
	;; [unrolled: 1-line block ×4, first 2 shown]
	v_fma_f64 v[24:25], v[128:129], v[92:93], v[24:25]
	v_fma_f64 v[26:27], v[120:121], v[180:181], v[26:27]
	v_fma_f64 v[28:29], v[128:129], v[94:95], -v[28:29]
	v_fma_f64 v[30:31], v[120:121], v[182:183], -v[30:31]
	v_add_f64_e32 v[48:49], v[80:81], v[0:1]
	v_add_f64_e32 v[32:33], v[0:1], v[2:3]
	;; [unrolled: 1-line block ×3, first 2 shown]
	v_add_f64_e64 v[50:51], v[4:5], -v[6:7]
	v_add_f64_e32 v[4:5], v[82:83], v[4:5]
	v_add_f64_e32 v[36:37], v[8:9], v[10:11]
	;; [unrolled: 1-line block ×13, first 2 shown]
	v_fma_f64 v[32:33], v[32:33], -0.5, v[80:81]
	v_add_f64_e64 v[80:81], v[0:1], -v[2:3]
	v_add_f64_e32 v[0:1], v[48:49], v[2:3]
	scratch_load_b32 v48, off, off offset:324 th:TH_LOAD_LU ; 4-byte Folded Reload
	v_fma_f64 v[34:35], v[34:35], -0.5, v[82:83]
	v_add_f64_e64 v[82:83], v[12:13], -v[14:15]
	v_add_f64_e32 v[2:3], v[4:5], v[6:7]
	v_fma_f64 v[36:37], v[36:37], -0.5, v[76:77]
	v_add_f64_e64 v[76:77], v[8:9], -v[10:11]
	v_fma_f64 v[40:41], v[40:41], -0.5, v[84:85]
	v_add_f64_e64 v[84:85], v[16:17], -v[18:19]
	v_add_f64_e32 v[8:9], v[56:57], v[18:19]
	v_fma_f64 v[38:39], v[38:39], -0.5, v[78:79]
	v_add_f64_e64 v[78:79], v[20:21], -v[22:23]
	v_add_f64_e32 v[4:5], v[52:53], v[10:11]
	v_add_f64_e32 v[10:11], v[58:59], v[22:23]
	;; [unrolled: 1-line block ×3, first 2 shown]
	v_fma_f64 v[44:45], v[44:45], -0.5, v[72:73]
	v_add_f64_e64 v[72:73], v[24:25], -v[26:27]
	v_add_f64_e32 v[12:13], v[88:89], v[26:27]
	v_fma_f64 v[42:43], v[42:43], -0.5, v[86:87]
	v_add_f64_e64 v[86:87], v[28:29], -v[30:31]
	v_add_f64_e32 v[14:15], v[90:91], v[30:31]
	v_fma_f64 v[46:47], v[46:47], -0.5, v[74:75]
	v_fma_f64 v[16:17], v[50:51], s[2:3], v[32:33]
	s_wait_alu 0xfffe
	v_fma_f64 v[20:21], v[50:51], s[8:9], v[32:33]
	v_fma_f64 v[18:19], v[80:81], s[8:9], v[34:35]
	;; [unrolled: 1-line block ×3, first 2 shown]
	s_wait_loadcnt 0x0
	ds_store_b128 v48, v[0:3]
	ds_store_b128 v48, v[16:19] offset:624
	ds_store_b128 v48, v[20:23] offset:1248
	scratch_load_b32 v0, off, off offset:320 th:TH_LOAD_LU ; 4-byte Folded Reload
	v_fma_f64 v[24:25], v[82:83], s[2:3], v[36:37]
	v_fma_f64 v[26:27], v[76:77], s[8:9], v[38:39]
	;; [unrolled: 1-line block ×12, first 2 shown]
	s_wait_loadcnt 0x0
	ds_store_b128 v0, v[4:7]
	ds_store_b128 v0, v[24:27] offset:624
	ds_store_b128 v0, v[28:31] offset:1248
	scratch_load_b32 v0, off, off offset:316 th:TH_LOAD_LU ; 4-byte Folded Reload
	s_wait_loadcnt 0x0
	ds_store_b128 v0, v[8:11]
	ds_store_b128 v0, v[32:35] offset:624
	ds_store_b128 v0, v[36:39] offset:1248
	scratch_load_b32 v0, off, off offset:312 th:TH_LOAD_LU ; 4-byte Folded Reload
	s_wait_loadcnt 0x0
	ds_store_b128 v0, v[12:15]
	ds_store_b128 v0, v[40:43] offset:624
	ds_store_b128 v0, v[44:47] offset:1248
	s_and_saveexec_b32 s10, vcc_lo
	s_cbranch_execz .LBB0_17
; %bb.16:
	s_clause 0x1
	scratch_load_b128 v[12:15], off, off offset:416 th:TH_LOAD_LU
	scratch_load_b128 v[8:11], off, off offset:400 th:TH_LOAD_LU
	s_wait_loadcnt 0x1
	v_mul_f64_e32 v[0:1], v[14:15], v[64:65]
	s_wait_loadcnt 0x0
	v_mul_f64_e32 v[2:3], v[10:11], v[68:69]
	v_mul_f64_e32 v[4:5], v[14:15], v[66:67]
	;; [unrolled: 1-line block ×3, first 2 shown]
	s_delay_alu instid0(VALU_DEP_4) | instskip(NEXT) | instid1(VALU_DEP_4)
	v_fma_f64 v[0:1], v[12:13], v[66:67], -v[0:1]
	v_fma_f64 v[2:3], v[8:9], v[70:71], -v[2:3]
	s_delay_alu instid0(VALU_DEP_4) | instskip(NEXT) | instid1(VALU_DEP_4)
	v_fma_f64 v[4:5], v[12:13], v[64:65], v[4:5]
	v_fma_f64 v[6:7], v[8:9], v[68:69], v[6:7]
	s_delay_alu instid0(VALU_DEP_4) | instskip(NEXT) | instid1(VALU_DEP_4)
	v_add_f64_e32 v[14:15], v[62:63], v[0:1]
	v_add_f64_e32 v[8:9], v[0:1], v[2:3]
	v_add_f64_e64 v[16:17], v[0:1], -v[2:3]
	s_delay_alu instid0(VALU_DEP_4)
	v_add_f64_e32 v[10:11], v[4:5], v[6:7]
	v_add_f64_e64 v[12:13], v[4:5], -v[6:7]
	v_add_f64_e32 v[4:5], v[60:61], v[4:5]
	v_add_f64_e32 v[2:3], v[14:15], v[2:3]
	v_fma_f64 v[8:9], v[8:9], -0.5, v[62:63]
	v_fma_f64 v[18:19], v[10:11], -0.5, v[60:61]
	s_delay_alu instid0(VALU_DEP_4) | instskip(NEXT) | instid1(VALU_DEP_3)
	v_add_f64_e32 v[0:1], v[4:5], v[6:7]
	v_fma_f64 v[6:7], v[12:13], s[2:3], v[8:9]
	v_fma_f64 v[10:11], v[12:13], s[8:9], v[8:9]
	scratch_load_b32 v12, off, off offset:308 th:TH_LOAD_LU ; 4-byte Folded Reload
	v_fma_f64 v[8:9], v[16:17], s[2:3], v[18:19]
	v_fma_f64 v[4:5], v[16:17], s[8:9], v[18:19]
	s_wait_loadcnt 0x0
	v_lshlrev_b32_e32 v12, 4, v12
	ds_store_b128 v12, v[0:3] offset:22464
	ds_store_b128 v12, v[8:11] offset:23088
	;; [unrolled: 1-line block ×3, first 2 shown]
.LBB0_17:
	s_wait_alu 0xfffe
	s_or_b32 exec_lo, exec_lo, s10
	global_wb scope:SCOPE_SE
	s_wait_dscnt 0x0
	s_barrier_signal -1
	s_barrier_wait -1
	global_inv scope:SCOPE_SE
	ds_load_b128 v[0:3], v255 offset:1872
	ds_load_b128 v[6:9], v255 offset:22464
	ds_load_b128 v[10:13], v255 offset:3744
	ds_load_b128 v[14:17], v255 offset:20592
	ds_load_b128 v[52:55], v255
	ds_load_b128 v[18:21], v255 offset:5616
	ds_load_b128 v[22:25], v255 offset:18720
	;; [unrolled: 1-line block ×8, first 2 shown]
	s_mov_b32 s12, 0x4267c47c
	s_mov_b32 s14, 0xe00740e9
	;; [unrolled: 1-line block ×13, first 2 shown]
	s_wait_dscnt 0xc
	v_mul_f64_e32 v[4:5], v[114:115], v[2:3]
	v_mul_f64_e32 v[50:51], v[114:115], v[0:1]
	s_wait_dscnt 0xb
	v_mul_f64_e32 v[56:57], v[178:179], v[6:7]
	s_wait_dscnt 0xa
	v_mul_f64_e32 v[58:59], v[106:107], v[10:11]
	v_mul_f64_e32 v[62:63], v[106:107], v[12:13]
	s_wait_dscnt 0x6
	v_mul_f64_e32 v[66:67], v[170:171], v[22:23]
	v_mul_f64_e32 v[70:71], v[178:179], v[8:9]
	;; [unrolled: 1-line block ×3, first 2 shown]
	s_wait_dscnt 0x5
	v_mul_f64_e32 v[76:77], v[110:111], v[26:27]
	v_mul_f64_e32 v[78:79], v[170:171], v[24:25]
	s_wait_dscnt 0x2
	v_mul_f64_e32 v[80:81], v[166:167], v[40:41]
	v_mul_f64_e32 v[60:61], v[174:175], v[14:15]
	;; [unrolled: 1-line block ×8, first 2 shown]
	s_wait_dscnt 0x1
	v_mul_f64_e32 v[86:87], v[150:151], v[42:43]
	s_wait_dscnt 0x0
	v_mul_f64_e32 v[88:89], v[162:163], v[48:49]
	v_mul_f64_e32 v[90:91], v[162:163], v[46:47]
	s_mov_b32 s21, 0x3fbedb7d
	s_mov_b32 s29, 0xbfd6b1d8
	;; [unrolled: 1-line block ×15, first 2 shown]
	s_wait_alu 0xfffe
	s_mov_b32 s2, s12
	s_mov_b32 s8, s10
	v_fma_f64 v[84:85], v[112:113], v[0:1], v[4:5]
	v_fma_f64 v[50:51], v[112:113], v[2:3], -v[50:51]
	v_fma_f64 v[0:1], v[176:177], v[8:9], -v[56:57]
	;; [unrolled: 1-line block ×3, first 2 shown]
	v_mul_f64_e32 v[58:59], v[154:155], v[30:31]
	v_fma_f64 v[8:9], v[168:169], v[24:25], -v[66:67]
	v_fma_f64 v[24:25], v[104:105], v[10:11], v[62:63]
	v_fma_f64 v[2:3], v[176:177], v[6:7], v[70:71]
	;; [unrolled: 1-line block ×4, first 2 shown]
	v_fma_f64 v[22:23], v[108:109], v[28:29], -v[76:77]
	v_fma_f64 v[14:15], v[164:165], v[38:39], v[80:81]
	v_fma_f64 v[4:5], v[172:173], v[16:17], -v[60:61]
	v_mul_f64_e32 v[16:17], v[154:155], v[32:33]
	v_fma_f64 v[20:21], v[100:101], v[20:21], -v[64:65]
	v_fma_f64 v[62:63], v[100:101], v[18:19], v[68:69]
	v_fma_f64 v[18:19], v[156:157], v[34:35], v[92:93]
	v_mul_f64_e32 v[60:61], v[150:151], v[44:45]
	v_fma_f64 v[12:13], v[164:165], v[40:41], -v[82:83]
	v_fma_f64 v[26:27], v[108:109], v[26:27], v[72:73]
	v_fma_f64 v[44:45], v[148:149], v[44:45], -v[86:87]
	v_fma_f64 v[46:47], v[160:161], v[46:47], v[88:89]
	v_fma_f64 v[48:49], v[160:161], v[48:49], -v[90:91]
	s_mov_b32 s22, s18
	s_mov_b32 s30, s26
	;; [unrolled: 1-line block ×5, first 2 shown]
	v_add_f64_e32 v[28:29], v[52:53], v[84:85]
	v_add_f64_e32 v[38:39], v[54:55], v[50:51]
	v_add_f64_e64 v[40:41], v[50:51], -v[0:1]
	v_add_f64_e32 v[50:51], v[50:51], v[0:1]
	v_fma_f64 v[32:33], v[152:153], v[32:33], -v[58:59]
	v_add_f64_e32 v[58:59], v[84:85], v[2:3]
	v_add_f64_e32 v[68:69], v[24:25], v[6:7]
	v_add_f64_e64 v[70:71], v[24:25], -v[6:7]
	v_add_f64_e64 v[64:65], v[56:57], -v[4:5]
	v_fma_f64 v[30:31], v[152:153], v[30:31], v[16:17]
	v_fma_f64 v[16:17], v[156:157], v[36:37], -v[94:95]
	v_add_f64_e64 v[34:35], v[20:21], -v[8:9]
	v_add_f64_e32 v[36:37], v[20:21], v[8:9]
	v_add_f64_e32 v[66:67], v[56:57], v[4:5]
	v_fma_f64 v[42:43], v[148:149], v[42:43], v[60:61]
	v_add_f64_e64 v[60:61], v[84:85], -v[2:3]
	v_add_f64_e32 v[72:73], v[62:63], v[10:11]
	v_add_f64_e64 v[74:75], v[62:63], -v[10:11]
	v_add_f64_e32 v[76:77], v[26:27], v[14:15]
	v_add_f64_e32 v[78:79], v[22:23], v[12:13]
	v_add_f64_e64 v[80:81], v[26:27], -v[14:15]
	v_add_f64_e64 v[82:83], v[22:23], -v[12:13]
	v_add_f64_e32 v[24:25], v[28:29], v[24:25]
	v_add_f64_e32 v[28:29], v[38:39], v[56:57]
	v_mul_f64_e32 v[38:39], s[12:13], v[40:41]
	v_mul_f64_e32 v[56:57], s[14:15], v[50:51]
	;; [unrolled: 1-line block ×20, first 2 shown]
	s_wait_alu 0xfffe
	v_mul_f64_e32 v[112:113], s[38:39], v[64:65]
	v_mul_f64_e32 v[116:117], s[22:23], v[64:65]
	;; [unrolled: 1-line block ×16, first 2 shown]
	v_add_f64_e32 v[24:25], v[24:25], v[62:63]
	v_add_f64_e32 v[20:21], v[28:29], v[20:21]
	v_fma_f64 v[28:29], v[58:59], s[14:15], v[38:39]
	v_fma_f64 v[62:63], v[60:61], s[2:3], v[56:57]
	v_fma_f64 v[38:39], v[58:59], s[14:15], -v[38:39]
	v_fma_f64 v[160:161], v[58:59], s[16:17], v[84:85]
	v_fma_f64 v[162:163], v[60:61], s[8:9], v[86:87]
	v_fma_f64 v[84:85], v[58:59], s[16:17], -v[84:85]
	v_fma_f64 v[86:87], v[60:61], s[10:11], v[86:87]
	v_fma_f64 v[164:165], v[58:59], s[20:21], v[88:89]
	;; [unrolled: 1-line block ×7, first 2 shown]
	v_fma_f64 v[88:89], v[58:59], s[20:21], -v[88:89]
	v_fma_f64 v[90:91], v[60:61], s[18:19], v[90:91]
	v_fma_f64 v[168:169], v[58:59], s[28:29], v[92:93]
	v_fma_f64 v[92:93], v[58:59], s[28:29], -v[92:93]
	v_fma_f64 v[172:173], v[58:59], s[36:37], v[96:97]
	v_fma_f64 v[96:97], v[58:59], s[36:37], -v[96:97]
	v_fma_f64 v[98:99], v[60:61], s[24:25], v[98:99]
	v_fma_f64 v[176:177], v[58:59], s[42:43], v[40:41]
	v_fma_f64 v[178:179], v[60:61], s[34:35], v[50:51]
	v_fma_f64 v[40:41], v[58:59], s[42:43], -v[40:41]
	v_fma_f64 v[50:51], v[60:61], s[40:41], v[50:51]
	v_fma_f64 v[58:59], v[68:69], s[16:17], v[100:101]
	;; [unrolled: 4-line block ×3, first 2 shown]
	v_fma_f64 v[104:105], v[68:69], s[28:29], -v[104:105]
	v_fma_f64 v[106:107], v[70:71], s[26:27], v[106:107]
	v_fma_f64 v[184:185], v[68:69], s[42:43], v[108:109]
	;; [unrolled: 1-line block ×4, first 2 shown]
	v_mul_f64_e32 v[140:141], s[26:27], v[82:83]
	v_mul_f64_e32 v[142:143], s[28:29], v[78:79]
	v_add_f64_e32 v[24:25], v[24:25], v[26:27]
	v_add_f64_e32 v[20:21], v[20:21], v[22:23]
	v_fma_f64 v[26:27], v[70:71], s[38:39], v[114:115]
	v_fma_f64 v[114:115], v[70:71], s[18:19], v[118:119]
	v_add_f64_e32 v[62:63], v[54:55], v[62:63]
	v_add_f64_e32 v[38:39], v[52:53], v[38:39]
	;; [unrolled: 1-line block ×10, first 2 shown]
	v_mul_f64_e32 v[144:145], s[38:39], v[82:83]
	v_mul_f64_e32 v[146:147], s[36:37], v[78:79]
	;; [unrolled: 1-line block ×10, first 2 shown]
	v_fma_f64 v[102:103], v[70:71], s[10:11], v[102:103]
	v_fma_f64 v[108:109], v[68:69], s[42:43], -v[108:109]
	v_fma_f64 v[110:111], v[70:71], s[40:41], v[110:111]
	v_fma_f64 v[188:189], v[68:69], s[36:37], v[112:113]
	v_fma_f64 v[22:23], v[68:69], s[36:37], -v[112:113]
	v_fma_f64 v[112:113], v[68:69], s[20:21], v[116:117]
	v_fma_f64 v[116:117], v[68:69], s[20:21], -v[116:117]
	v_fma_f64 v[118:119], v[70:71], s[22:23], v[118:119]
	v_add_f64_e32 v[28:29], v[52:53], v[28:29]
	v_fma_f64 v[192:193], v[68:69], s[14:15], v[64:65]
	v_fma_f64 v[194:195], v[70:71], s[12:13], v[66:67]
	v_fma_f64 v[64:65], v[68:69], s[14:15], -v[64:65]
	v_fma_f64 v[66:67], v[70:71], s[2:3], v[66:67]
	v_fma_f64 v[68:69], v[72:73], s[20:21], v[120:121]
	v_add_f64_e32 v[24:25], v[24:25], v[30:31]
	v_add_f64_e32 v[20:21], v[20:21], v[32:33]
	;; [unrolled: 1-line block ×3, first 2 shown]
	v_fma_f64 v[120:121], v[72:73], s[20:21], -v[120:121]
	v_add_f64_e32 v[88:89], v[52:53], v[88:89]
	v_add_f64_e32 v[90:91], v[54:55], v[90:91]
	;; [unrolled: 1-line block ×12, first 2 shown]
	v_fma_f64 v[52:53], v[72:73], s[42:43], v[124:125]
	v_fma_f64 v[54:55], v[74:75], s[34:35], v[126:127]
	v_add_f64_e32 v[60:61], v[60:61], v[62:63]
	v_fma_f64 v[62:63], v[74:75], s[26:27], v[130:131]
	v_add_f64_e32 v[38:39], v[100:101], v[38:39]
	v_add_f64_e32 v[160:161], v[180:181], v[160:161]
	v_add_f64_e32 v[162:163], v[182:183], v[162:163]
	v_fma_f64 v[182:183], v[74:75], s[8:9], v[138:139]
	v_add_f64_e32 v[84:85], v[104:105], v[84:85]
	v_add_f64_e32 v[86:87], v[106:107], v[86:87]
	;; [unrolled: 1-line block ×6, first 2 shown]
	v_add_f64_e64 v[164:165], v[32:33], -v[16:17]
	v_add_f64_e32 v[32:33], v[32:33], v[16:17]
	v_fma_f64 v[70:71], v[74:75], s[22:23], v[122:123]
	v_fma_f64 v[122:123], v[74:75], s[18:19], v[122:123]
	v_fma_f64 v[124:125], v[72:73], s[42:43], -v[124:125]
	v_fma_f64 v[126:127], v[74:75], s[40:41], v[126:127]
	v_add_f64_e32 v[28:29], v[58:59], v[28:29]
	v_fma_f64 v[58:59], v[72:73], s[28:29], v[128:129]
	v_add_f64_e32 v[24:25], v[24:25], v[42:43]
	v_add_f64_e32 v[20:21], v[20:21], v[44:45]
	v_fma_f64 v[128:129], v[72:73], s[28:29], -v[128:129]
	v_fma_f64 v[130:131], v[74:75], s[30:31], v[130:131]
	v_fma_f64 v[100:101], v[72:73], s[14:15], v[132:133]
	v_add_f64_e32 v[56:57], v[102:103], v[56:57]
	v_fma_f64 v[102:103], v[74:75], s[12:13], v[134:135]
	v_fma_f64 v[132:133], v[72:73], s[14:15], -v[132:133]
	v_fma_f64 v[134:135], v[74:75], s[2:3], v[134:135]
	v_fma_f64 v[180:181], v[72:73], s[16:17], v[136:137]
	v_fma_f64 v[136:137], v[72:73], s[16:17], -v[136:137]
	v_fma_f64 v[138:139], v[74:75], s[10:11], v[138:139]
	v_add_f64_e32 v[88:89], v[108:109], v[88:89]
	v_add_f64_e32 v[90:91], v[110:111], v[90:91]
	;; [unrolled: 1-line block ×6, first 2 shown]
	v_fma_f64 v[112:113], v[72:73], s[36:37], v[34:35]
	v_fma_f64 v[114:115], v[74:75], s[38:39], v[36:37]
	v_fma_f64 v[34:35], v[72:73], s[36:37], -v[34:35]
	v_fma_f64 v[36:37], v[74:75], s[24:25], v[36:37]
	v_fma_f64 v[72:73], v[76:77], s[28:29], v[140:141]
	v_fma_f64 v[74:75], v[80:81], s[30:31], v[142:143]
	v_fma_f64 v[140:141], v[76:77], s[28:29], -v[140:141]
	v_fma_f64 v[142:143], v[80:81], s[26:27], v[142:143]
	;; [unrolled: 4-line block ×5, first 2 shown]
	v_fma_f64 v[186:187], v[76:77], s[42:43], v[156:157]
	v_add_f64_e32 v[20:21], v[20:21], v[48:49]
	v_fma_f64 v[188:189], v[80:81], s[40:41], v[158:159]
	v_fma_f64 v[156:157], v[76:77], s[42:43], -v[156:157]
	v_fma_f64 v[158:159], v[80:81], s[34:35], v[158:159]
	v_fma_f64 v[190:191], v[76:77], s[16:17], v[82:83]
	v_fma_f64 v[76:77], v[76:77], s[16:17], -v[82:83]
	v_fma_f64 v[82:83], v[80:81], s[10:11], v[78:79]
	v_fma_f64 v[78:79], v[80:81], s[8:9], v[78:79]
	v_add_f64_e64 v[80:81], v[44:45], -v[48:49]
	v_add_f64_e32 v[44:45], v[44:45], v[48:49]
	v_add_f64_e32 v[96:97], v[116:117], v[96:97]
	;; [unrolled: 1-line block ×3, first 2 shown]
	v_add_f64_e64 v[42:43], v[42:43], -v[46:47]
	v_add_f64_e32 v[24:25], v[24:25], v[46:47]
	v_add_f64_e32 v[46:47], v[30:31], v[18:19]
	v_add_f64_e64 v[30:31], v[30:31], -v[18:19]
	v_add_f64_e32 v[98:99], v[118:119], v[98:99]
	v_mul_f64_e32 v[118:119], s[24:25], v[164:165]
	v_add_f64_e32 v[178:179], v[194:195], v[178:179]
	v_mul_f64_e32 v[194:195], s[20:21], v[32:33]
	v_add_f64_e32 v[40:41], v[64:65], v[40:41]
	v_add_f64_e32 v[50:51], v[66:67], v[50:51]
	v_mul_f64_e32 v[66:67], s[16:17], v[32:33]
	v_add_f64_e32 v[38:39], v[120:121], v[38:39]
	;; [unrolled: 3-line block ×3, first 2 shown]
	v_add_f64_e32 v[62:63], v[62:63], v[106:107]
	v_add_f64_e32 v[94:95], v[182:183], v[94:95]
	v_mul_f64_e32 v[48:49], s[36:37], v[32:33]
	v_mul_f64_e32 v[64:65], s[10:11], v[164:165]
	v_add_f64_e32 v[28:29], v[68:69], v[28:29]
	v_mul_f64_e32 v[68:69], s[34:35], v[164:165]
	v_add_f64_e32 v[56:57], v[122:123], v[56:57]
	v_add_f64_e32 v[58:59], v[58:59], v[104:105]
	;; [unrolled: 1-line block ×9, first 2 shown]
	v_mul_f64_e32 v[120:121], s[42:43], v[32:33]
	v_mul_f64_e32 v[32:33], s[28:29], v[32:33]
	;; [unrolled: 1-line block ×3, first 2 shown]
	v_add_f64_e32 v[100:101], v[100:101], v[108:109]
	v_mul_f64_e32 v[130:131], s[8:9], v[80:81]
	v_mul_f64_e32 v[128:129], s[36:37], v[44:45]
	;; [unrolled: 1-line block ×3, first 2 shown]
	v_add_f64_e32 v[96:97], v[136:137], v[96:97]
	v_mul_f64_e32 v[122:123], s[2:3], v[164:165]
	v_add_f64_e32 v[18:19], v[24:25], v[18:19]
	v_mul_f64_e32 v[164:165], s[26:27], v[164:165]
	v_add_f64_e32 v[84:85], v[124:125], v[84:85]
	v_add_f64_e32 v[98:99], v[138:139], v[98:99]
	v_fma_f64 v[110:111], v[46:47], s[36:37], v[118:119]
	v_fma_f64 v[118:119], v[46:47], s[36:37], -v[118:119]
	v_fma_f64 v[180:181], v[30:31], s[18:19], v[194:195]
	v_add_f64_e32 v[114:115], v[114:115], v[178:179]
	v_add_f64_e32 v[34:35], v[34:35], v[40:41]
	v_fma_f64 v[136:137], v[30:31], s[8:9], v[66:67]
	v_add_f64_e32 v[36:37], v[36:37], v[50:51]
	v_add_f64_e32 v[38:39], v[140:141], v[38:39]
	;; [unrolled: 3-line block ×3, first 2 shown]
	v_add_f64_e32 v[94:95], v[188:189], v[94:95]
	v_fma_f64 v[132:133], v[30:31], s[38:39], v[48:49]
	v_fma_f64 v[48:49], v[30:31], s[24:25], v[48:49]
	;; [unrolled: 1-line block ×5, first 2 shown]
	v_fma_f64 v[68:69], v[46:47], s[42:43], -v[68:69]
	v_add_f64_e32 v[28:29], v[72:73], v[28:29]
	v_add_f64_e32 v[56:57], v[142:143], v[56:57]
	;; [unrolled: 1-line block ×9, first 2 shown]
	v_fma_f64 v[194:195], v[30:31], s[22:23], v[194:195]
	v_fma_f64 v[176:177], v[30:31], s[40:41], v[120:121]
	;; [unrolled: 1-line block ×7, first 2 shown]
	v_add_f64_e32 v[14:15], v[18:19], v[14:15]
	v_fma_f64 v[16:17], v[30:31], s[26:27], v[32:33]
	v_add_f64_e32 v[30:31], v[70:71], v[60:61]
	v_mul_f64_e32 v[162:163], s[40:41], v[80:81]
	v_mul_f64_e32 v[126:127], s[2:3], v[80:81]
	;; [unrolled: 1-line block ×3, first 2 shown]
	v_fma_f64 v[134:135], v[46:47], s[20:21], v[192:193]
	v_add_f64_e32 v[82:83], v[82:83], v[114:115]
	v_fma_f64 v[114:115], v[116:117], s[16:17], -v[130:131]
	v_add_f64_e32 v[52:53], v[166:167], v[52:53]
	v_add_f64_e32 v[36:37], v[78:79], v[36:37]
	v_fma_f64 v[78:79], v[116:117], s[16:17], v[130:131]
	v_fma_f64 v[130:131], v[42:43], s[30:31], v[20:21]
	v_add_f64_e32 v[20:21], v[118:119], v[38:39]
	v_add_f64_e32 v[38:39], v[180:181], v[54:55]
	;; [unrolled: 1-line block ×4, first 2 shown]
	v_mul_f64_e32 v[106:107], s[24:25], v[80:81]
	v_mul_f64_e32 v[124:125], s[42:43], v[44:45]
	;; [unrolled: 1-line block ×3, first 2 shown]
	v_fma_f64 v[64:65], v[46:47], s[16:17], -v[64:65]
	v_add_f64_e32 v[88:89], v[148:149], v[88:89]
	v_add_f64_e32 v[100:101], v[174:175], v[100:101]
	;; [unrolled: 1-line block ×3, first 2 shown]
	v_mul_f64_e32 v[108:109], s[26:27], v[80:81]
	v_add_f64_e32 v[8:9], v[12:13], v[8:9]
	v_fma_f64 v[178:179], v[46:47], s[14:15], v[122:123]
	v_add_f64_e32 v[92:93], v[186:187], v[92:93]
	v_mul_f64_e32 v[80:81], s[22:23], v[80:81]
	v_mul_f64_e32 v[44:45], s[20:21], v[44:45]
	v_fma_f64 v[192:193], v[46:47], s[20:21], -v[192:193]
	v_fma_f64 v[122:123], v[46:47], s[14:15], -v[122:123]
	v_fma_f64 v[18:19], v[46:47], s[28:29], v[164:165]
	v_fma_f64 v[46:47], v[46:47], s[28:29], -v[164:165]
	v_add_f64_e32 v[84:85], v[144:145], v[84:85]
	v_add_f64_e32 v[26:27], v[154:155], v[26:27]
	v_add_f64_e32 v[112:113], v[190:191], v[112:113]
	v_add_f64_e32 v[34:35], v[76:77], v[34:35]
	v_add_f64_e32 v[10:11], v[14:15], v[10:11]
	v_add_f64_e32 v[14:15], v[110:111], v[28:29]
	v_add_f64_e32 v[28:29], v[48:49], v[56:57]
	v_add_f64_e32 v[48:49], v[182:183], v[58:59]
	v_add_f64_e32 v[58:59], v[66:67], v[90:91]
	v_add_f64_e32 v[66:67], v[68:69], v[22:23]
	v_add_f64_e32 v[86:87], v[146:147], v[86:87]
	v_add_f64_e32 v[96:97], v[156:157], v[96:97]
	v_add_f64_e32 v[98:99], v[158:159], v[98:99]
	v_add_f64_e32 v[12:13], v[74:75], v[30:31]
	v_fma_f64 v[32:33], v[116:117], s[42:43], v[162:163]
	v_fma_f64 v[60:61], v[116:117], s[42:43], -v[162:163]
	v_fma_f64 v[162:163], v[116:117], s[14:15], v[126:127]
	v_fma_f64 v[164:165], v[42:43], s[12:13], v[104:105]
	v_add_f64_e32 v[30:31], v[134:135], v[52:53]
	v_add_f64_e32 v[22:23], v[140:141], v[54:55]
	v_fma_f64 v[126:127], v[116:117], s[14:15], -v[126:127]
	v_fma_f64 v[72:73], v[116:117], s[36:37], v[106:107]
	v_fma_f64 v[70:71], v[42:43], s[40:41], v[124:125]
	v_fma_f64 v[76:77], v[116:117], s[36:37], -v[106:107]
	v_fma_f64 v[106:107], v[42:43], s[10:11], v[24:25]
	v_add_f64_e32 v[56:57], v[64:65], v[88:89]
	v_add_f64_e32 v[62:63], v[138:139], v[100:101]
	;; [unrolled: 1-line block ×3, first 2 shown]
	v_fma_f64 v[74:75], v[116:117], s[28:29], v[108:109]
	v_add_f64_e32 v[94:95], v[8:9], v[4:5]
	v_fma_f64 v[108:109], v[116:117], s[28:29], -v[108:109]
	v_add_f64_e32 v[68:69], v[178:179], v[92:93]
	v_fma_f64 v[144:145], v[116:117], s[20:21], v[80:81]
	v_fma_f64 v[146:147], v[42:43], s[18:19], v[44:45]
	v_fma_f64 v[80:81], v[116:117], s[20:21], -v[80:81]
	v_fma_f64 v[116:117], v[42:43], s[22:23], v[44:45]
	v_add_f64_e32 v[50:51], v[50:51], v[82:83]
	v_fma_f64 v[88:89], v[42:43], s[8:9], v[24:25]
	v_add_f64_e32 v[44:45], v[192:193], v[84:85]
	v_add_f64_e32 v[26:27], v[120:121], v[26:27]
	v_add_f64_e32 v[18:19], v[18:19], v[112:113]
	v_add_f64_e32 v[34:35], v[46:47], v[34:35]
	v_fma_f64 v[90:91], v[42:43], s[24:25], v[128:129]
	v_add_f64_e32 v[82:83], v[16:17], v[36:37]
	v_add_f64_e32 v[6:7], v[10:11], v[6:7]
	v_fma_f64 v[92:93], v[42:43], s[2:3], v[104:105]
	s_mul_u64 s[2:3], s[4:5], 0x750
	v_add_f64_e32 v[52:53], v[194:195], v[86:87]
	v_add_f64_e32 v[84:85], v[122:123], v[96:97]
	v_add_f64_e32 v[86:87], v[160:161], v[98:99]
	v_fma_f64 v[96:97], v[42:43], s[34:35], v[124:125]
	v_add_f64_e32 v[98:99], v[132:133], v[12:13]
	v_add_f64_e32 v[4:5], v[32:33], v[14:15]
	;; [unrolled: 1-line block ×13, first 2 shown]
	scratch_load_b64 v[0:1], off, off th:TH_LOAD_LU ; 8-byte Folded Reload
	v_add_f64_e32 v[36:37], v[74:75], v[68:69]
	v_add_f64_e32 v[46:47], v[146:147], v[50:51]
	;; [unrolled: 1-line block ×7, first 2 shown]
	v_mad_co_u64_u32 v[58:59], null, s4, v200, 0
	v_add_f64_e32 v[50:51], v[116:117], v[82:83]
	v_add_f64_e32 v[18:19], v[92:93], v[52:53]
	v_add_f64_e32 v[40:41], v[108:109], v[84:85]
	v_add_f64_e32 v[42:43], v[142:143], v[86:87]
	v_add_f64_e32 v[52:53], v[6:7], v[2:3]
	v_add_f64_e32 v[6:7], v[96:97], v[98:99]
	ds_store_b128 v255, v[12:15] offset:3744
	ds_store_b128 v255, v[20:23] offset:5616
	;; [unrolled: 1-line block ×11, first 2 shown]
	ds_store_b128 v255, v[52:55]
	ds_store_b128 v255, v[4:7] offset:1872
	global_wb scope:SCOPE_SE
	s_wait_loadcnt_dscnt 0x0
	s_barrier_signal -1
	s_barrier_wait -1
	global_inv scope:SCOPE_SE
	ds_load_b128 v[8:11], v255 offset:3744
	v_mov_b32_e32 v1, v59
	ds_load_b128 v[4:7], v255 offset:1872
	v_mov_b32_e32 v2, v0
	s_delay_alu instid0(VALU_DEP_1) | instskip(NEXT) | instid1(VALU_DEP_1)
	v_mad_co_u64_u32 v[56:57], null, s6, v2, 0
	v_mov_b32_e32 v0, v57
	s_delay_alu instid0(VALU_DEP_1) | instskip(NEXT) | instid1(VALU_DEP_1)
	v_mad_co_u64_u32 v[2:3], null, s7, v2, v[0:1]
	v_mov_b32_e32 v57, v2
	v_mad_co_u64_u32 v[0:1], null, s5, v200, v[1:2]
	s_delay_alu instid0(VALU_DEP_2) | instskip(NEXT) | instid1(VALU_DEP_2)
	v_lshlrev_b64_e32 v[28:29], 4, v[56:57]
	v_mov_b32_e32 v59, v0
	ds_load_b128 v[0:3], v255
	v_add_co_u32 v82, vcc_lo, s0, v28
	ds_load_b128 v[12:15], v255 offset:5616
	ds_load_b128 v[16:19], v255 offset:7488
	;; [unrolled: 1-line block ×4, first 2 shown]
	s_wait_alu 0xfffd
	v_add_co_ci_u32_e32 v83, vcc_lo, s1, v29, vcc_lo
	ds_load_b128 v[28:31], v255 offset:13104
	ds_load_b128 v[32:35], v255 offset:14976
	;; [unrolled: 1-line block ×6, first 2 shown]
	s_clause 0x1
	scratch_load_b128 v[114:117], off, off offset:24 th:TH_LOAD_LU
	scratch_load_b128 v[110:113], off, off offset:8 th:TH_LOAD_LU
	v_lshlrev_b64_e32 v[52:53], 4, v[58:59]
	s_mov_b32 s0, 0x509ee28c
	s_mov_b32 s1, 0x3f458b31
	s_delay_alu instid0(VALU_DEP_1) | instskip(SKIP_1) | instid1(VALU_DEP_2)
	v_add_co_u32 v52, vcc_lo, v82, v52
	s_wait_alu 0xfffd
	v_add_co_ci_u32_e32 v53, vcc_lo, v83, v53, vcc_lo
	s_wait_alu 0xfffe
	s_delay_alu instid0(VALU_DEP_2) | instskip(SKIP_1) | instid1(VALU_DEP_2)
	v_add_co_u32 v106, vcc_lo, v52, s2
	s_wait_alu 0xfffd
	v_add_co_ci_u32_e32 v107, vcc_lo, s3, v53, vcc_lo
	s_delay_alu instid0(VALU_DEP_2) | instskip(SKIP_1) | instid1(VALU_DEP_2)
	v_add_co_u32 v108, vcc_lo, v106, s2
	s_wait_alu 0xfffd
	v_add_co_ci_u32_e32 v109, vcc_lo, s3, v107, vcc_lo
	s_wait_loadcnt_dscnt 0x10a
	v_mul_f64_e32 v[54:55], v[116:117], v[2:3]
	v_mul_f64_e32 v[56:57], v[116:117], v[0:1]
	scratch_load_b128 v[116:119], off, off offset:40 th:TH_LOAD_LU ; 16-byte Folded Reload
	s_wait_loadcnt 0x1
	v_mul_f64_e32 v[58:59], v[112:113], v[6:7]
	v_mul_f64_e32 v[60:61], v[112:113], v[4:5]
	v_fma_f64 v[0:1], v[114:115], v[0:1], v[54:55]
	v_fma_f64 v[2:3], v[114:115], v[2:3], -v[56:57]
	v_add_co_u32 v54, vcc_lo, v108, s2
	v_fma_f64 v[4:5], v[110:111], v[4:5], v[58:59]
	v_fma_f64 v[6:7], v[110:111], v[6:7], -v[60:61]
	s_wait_alu 0xfffd
	v_add_co_ci_u32_e32 v55, vcc_lo, s3, v109, vcc_lo
	v_add_co_u32 v56, vcc_lo, v54, s2
	s_wait_alu 0xfffd
	s_delay_alu instid0(VALU_DEP_2) | instskip(NEXT) | instid1(VALU_DEP_2)
	v_add_co_ci_u32_e32 v57, vcc_lo, s3, v55, vcc_lo
	v_add_co_u32 v58, vcc_lo, v56, s2
	s_wait_alu 0xfffd
	s_delay_alu instid0(VALU_DEP_2) | instskip(NEXT) | instid1(VALU_DEP_2)
	v_add_co_ci_u32_e32 v59, vcc_lo, s3, v57, vcc_lo
	v_add_co_u32 v60, vcc_lo, v58, s2
	s_wait_alu 0xfffd
	s_delay_alu instid0(VALU_DEP_2)
	v_add_co_ci_u32_e32 v61, vcc_lo, s3, v59, vcc_lo
	v_mul_f64_e32 v[0:1], s[0:1], v[0:1]
	v_mul_f64_e32 v[2:3], s[0:1], v[2:3]
	;; [unrolled: 1-line block ×4, first 2 shown]
	s_wait_loadcnt 0x0
	v_mul_f64_e32 v[62:63], v[118:119], v[10:11]
	v_mul_f64_e32 v[64:65], v[118:119], v[8:9]
	scratch_load_b128 v[118:121], off, off offset:60 th:TH_LOAD_LU ; 16-byte Folded Reload
	v_fma_f64 v[8:9], v[116:117], v[8:9], v[62:63]
	v_fma_f64 v[10:11], v[116:117], v[10:11], -v[64:65]
	v_add_co_u32 v62, vcc_lo, v60, s2
	s_wait_alu 0xfffd
	v_add_co_ci_u32_e32 v63, vcc_lo, s3, v61, vcc_lo
	s_delay_alu instid0(VALU_DEP_2) | instskip(SKIP_1) | instid1(VALU_DEP_2)
	v_add_co_u32 v64, vcc_lo, v62, s2
	s_wait_alu 0xfffd
	v_add_co_ci_u32_e32 v65, vcc_lo, s3, v63, vcc_lo
	v_mul_f64_e32 v[8:9], s[0:1], v[8:9]
	v_mul_f64_e32 v[10:11], s[0:1], v[10:11]
	s_wait_loadcnt_dscnt 0x9
	v_mul_f64_e32 v[66:67], v[120:121], v[14:15]
	v_mul_f64_e32 v[68:69], v[120:121], v[12:13]
	scratch_load_b128 v[120:123], off, off offset:76 th:TH_LOAD_LU ; 16-byte Folded Reload
	v_fma_f64 v[12:13], v[118:119], v[12:13], v[66:67]
	v_fma_f64 v[14:15], v[118:119], v[14:15], -v[68:69]
	v_add_co_u32 v66, vcc_lo, v64, s2
	s_wait_alu 0xfffd
	v_add_co_ci_u32_e32 v67, vcc_lo, s3, v65, vcc_lo
	s_delay_alu instid0(VALU_DEP_4) | instskip(NEXT) | instid1(VALU_DEP_4)
	v_mul_f64_e32 v[12:13], s[0:1], v[12:13]
	v_mul_f64_e32 v[14:15], s[0:1], v[14:15]
	s_wait_loadcnt_dscnt 0x8
	v_mul_f64_e32 v[70:71], v[122:123], v[18:19]
	v_mul_f64_e32 v[72:73], v[122:123], v[16:17]
	scratch_load_b128 v[122:125], off, off offset:92 th:TH_LOAD_LU ; 16-byte Folded Reload
	v_fma_f64 v[16:17], v[120:121], v[16:17], v[70:71]
	v_fma_f64 v[18:19], v[120:121], v[18:19], -v[72:73]
	s_delay_alu instid0(VALU_DEP_2) | instskip(NEXT) | instid1(VALU_DEP_2)
	v_mul_f64_e32 v[16:17], s[0:1], v[16:17]
	v_mul_f64_e32 v[18:19], s[0:1], v[18:19]
	s_wait_loadcnt_dscnt 0x7
	v_mul_f64_e32 v[74:75], v[124:125], v[22:23]
	v_mul_f64_e32 v[76:77], v[124:125], v[20:21]
	scratch_load_b128 v[124:127], off, off offset:108 th:TH_LOAD_LU ; 16-byte Folded Reload
	v_fma_f64 v[20:21], v[122:123], v[20:21], v[74:75]
	v_fma_f64 v[22:23], v[122:123], v[22:23], -v[76:77]
	s_delay_alu instid0(VALU_DEP_2) | instskip(NEXT) | instid1(VALU_DEP_2)
	;; [unrolled: 9-line block ×7, first 2 shown]
	v_mul_f64_e32 v[40:41], s[0:1], v[40:41]
	v_mul_f64_e32 v[42:43], s[0:1], v[42:43]
	s_wait_loadcnt_dscnt 0x1
	v_mul_f64_e32 v[98:99], v[136:137], v[46:47]
	v_mul_f64_e32 v[100:101], v[136:137], v[44:45]
	scratch_load_b128 v[136:139], off, off offset:204 th:TH_LOAD_LU ; 16-byte Folded Reload
	s_clause 0x4
	global_store_b128 v[52:53], v[0:3], off
	global_store_b128 v[106:107], v[4:7], off
	;; [unrolled: 1-line block ×6, first 2 shown]
	v_add_co_u32 v0, vcc_lo, v66, s2
	s_wait_alu 0xfffd
	v_add_co_ci_u32_e32 v1, vcc_lo, s3, v67, vcc_lo
	global_store_b128 v[60:61], v[24:27], off
	v_add_co_u32 v2, vcc_lo, v0, s2
	s_wait_alu 0xfffd
	v_add_co_ci_u32_e32 v3, vcc_lo, s3, v1, vcc_lo
	global_store_b128 v[62:63], v[28:31], off
	v_add_co_u32 v4, vcc_lo, v2, s2
	s_wait_alu 0xfffd
	v_add_co_ci_u32_e32 v5, vcc_lo, s3, v3, vcc_lo
	v_fma_f64 v[44:45], v[134:135], v[44:45], v[98:99]
	v_fma_f64 v[46:47], v[134:135], v[46:47], -v[100:101]
	s_delay_alu instid0(VALU_DEP_2) | instskip(NEXT) | instid1(VALU_DEP_2)
	v_mul_f64_e32 v[44:45], s[0:1], v[44:45]
	v_mul_f64_e32 v[46:47], s[0:1], v[46:47]
	s_wait_loadcnt_dscnt 0x0
	v_mul_f64_e32 v[102:103], v[138:139], v[50:51]
	v_mul_f64_e32 v[104:105], v[138:139], v[48:49]
	s_delay_alu instid0(VALU_DEP_2) | instskip(NEXT) | instid1(VALU_DEP_2)
	v_fma_f64 v[48:49], v[136:137], v[48:49], v[102:103]
	v_fma_f64 v[50:51], v[136:137], v[50:51], -v[104:105]
	s_delay_alu instid0(VALU_DEP_2) | instskip(NEXT) | instid1(VALU_DEP_2)
	v_mul_f64_e32 v[48:49], s[0:1], v[48:49]
	v_mul_f64_e32 v[50:51], s[0:1], v[50:51]
	global_store_b128 v[64:65], v[32:35], off
	global_store_b128 v[66:67], v[36:39], off
	;; [unrolled: 1-line block ×5, first 2 shown]
.LBB0_18:
	s_nop 0
	s_sendmsg sendmsg(MSG_DEALLOC_VGPRS)
	s_endpgm
	.section	.rodata,"a",@progbits
	.p2align	6, 0x0
	.amdhsa_kernel bluestein_single_back_len1521_dim1_dp_op_CI_CI
		.amdhsa_group_segment_fixed_size 24336
		.amdhsa_private_segment_fixed_size 436
		.amdhsa_kernarg_size 104
		.amdhsa_user_sgpr_count 2
		.amdhsa_user_sgpr_dispatch_ptr 0
		.amdhsa_user_sgpr_queue_ptr 0
		.amdhsa_user_sgpr_kernarg_segment_ptr 1
		.amdhsa_user_sgpr_dispatch_id 0
		.amdhsa_user_sgpr_private_segment_size 0
		.amdhsa_wavefront_size32 1
		.amdhsa_uses_dynamic_stack 0
		.amdhsa_enable_private_segment 1
		.amdhsa_system_sgpr_workgroup_id_x 1
		.amdhsa_system_sgpr_workgroup_id_y 0
		.amdhsa_system_sgpr_workgroup_id_z 0
		.amdhsa_system_sgpr_workgroup_info 0
		.amdhsa_system_vgpr_workitem_id 0
		.amdhsa_next_free_vgpr 256
		.amdhsa_next_free_sgpr 46
		.amdhsa_reserve_vcc 1
		.amdhsa_float_round_mode_32 0
		.amdhsa_float_round_mode_16_64 0
		.amdhsa_float_denorm_mode_32 3
		.amdhsa_float_denorm_mode_16_64 3
		.amdhsa_fp16_overflow 0
		.amdhsa_workgroup_processor_mode 1
		.amdhsa_memory_ordered 1
		.amdhsa_forward_progress 0
		.amdhsa_round_robin_scheduling 0
		.amdhsa_exception_fp_ieee_invalid_op 0
		.amdhsa_exception_fp_denorm_src 0
		.amdhsa_exception_fp_ieee_div_zero 0
		.amdhsa_exception_fp_ieee_overflow 0
		.amdhsa_exception_fp_ieee_underflow 0
		.amdhsa_exception_fp_ieee_inexact 0
		.amdhsa_exception_int_div_zero 0
	.end_amdhsa_kernel
	.text
.Lfunc_end0:
	.size	bluestein_single_back_len1521_dim1_dp_op_CI_CI, .Lfunc_end0-bluestein_single_back_len1521_dim1_dp_op_CI_CI
                                        ; -- End function
	.section	.AMDGPU.csdata,"",@progbits
; Kernel info:
; codeLenInByte = 23072
; NumSgprs: 48
; NumVgprs: 256
; ScratchSize: 436
; MemoryBound: 0
; FloatMode: 240
; IeeeMode: 1
; LDSByteSize: 24336 bytes/workgroup (compile time only)
; SGPRBlocks: 5
; VGPRBlocks: 31
; NumSGPRsForWavesPerEU: 48
; NumVGPRsForWavesPerEU: 256
; Occupancy: 5
; WaveLimiterHint : 1
; COMPUTE_PGM_RSRC2:SCRATCH_EN: 1
; COMPUTE_PGM_RSRC2:USER_SGPR: 2
; COMPUTE_PGM_RSRC2:TRAP_HANDLER: 0
; COMPUTE_PGM_RSRC2:TGID_X_EN: 1
; COMPUTE_PGM_RSRC2:TGID_Y_EN: 0
; COMPUTE_PGM_RSRC2:TGID_Z_EN: 0
; COMPUTE_PGM_RSRC2:TIDIG_COMP_CNT: 0
	.text
	.p2alignl 7, 3214868480
	.fill 96, 4, 3214868480
	.type	__hip_cuid_c61ec26d506aa385,@object ; @__hip_cuid_c61ec26d506aa385
	.section	.bss,"aw",@nobits
	.globl	__hip_cuid_c61ec26d506aa385
__hip_cuid_c61ec26d506aa385:
	.byte	0                               ; 0x0
	.size	__hip_cuid_c61ec26d506aa385, 1

	.ident	"AMD clang version 19.0.0git (https://github.com/RadeonOpenCompute/llvm-project roc-6.4.0 25133 c7fe45cf4b819c5991fe208aaa96edf142730f1d)"
	.section	".note.GNU-stack","",@progbits
	.addrsig
	.addrsig_sym __hip_cuid_c61ec26d506aa385
	.amdgpu_metadata
---
amdhsa.kernels:
  - .args:
      - .actual_access:  read_only
        .address_space:  global
        .offset:         0
        .size:           8
        .value_kind:     global_buffer
      - .actual_access:  read_only
        .address_space:  global
        .offset:         8
        .size:           8
        .value_kind:     global_buffer
      - .actual_access:  read_only
        .address_space:  global
        .offset:         16
        .size:           8
        .value_kind:     global_buffer
      - .actual_access:  read_only
        .address_space:  global
        .offset:         24
        .size:           8
        .value_kind:     global_buffer
      - .actual_access:  read_only
        .address_space:  global
        .offset:         32
        .size:           8
        .value_kind:     global_buffer
      - .offset:         40
        .size:           8
        .value_kind:     by_value
      - .address_space:  global
        .offset:         48
        .size:           8
        .value_kind:     global_buffer
      - .address_space:  global
        .offset:         56
        .size:           8
        .value_kind:     global_buffer
      - .address_space:  global
        .offset:         64
        .size:           8
        .value_kind:     global_buffer
      - .address_space:  global
        .offset:         72
        .size:           8
        .value_kind:     global_buffer
      - .offset:         80
        .size:           4
        .value_kind:     by_value
      - .address_space:  global
        .offset:         88
        .size:           8
        .value_kind:     global_buffer
      - .address_space:  global
        .offset:         96
        .size:           8
        .value_kind:     global_buffer
    .group_segment_fixed_size: 24336
    .kernarg_segment_align: 8
    .kernarg_segment_size: 104
    .language:       OpenCL C
    .language_version:
      - 2
      - 0
    .max_flat_workgroup_size: 117
    .name:           bluestein_single_back_len1521_dim1_dp_op_CI_CI
    .private_segment_fixed_size: 436
    .sgpr_count:     48
    .sgpr_spill_count: 0
    .symbol:         bluestein_single_back_len1521_dim1_dp_op_CI_CI.kd
    .uniform_work_group_size: 1
    .uses_dynamic_stack: false
    .vgpr_count:     256
    .vgpr_spill_count: 108
    .wavefront_size: 32
    .workgroup_processor_mode: 1
amdhsa.target:   amdgcn-amd-amdhsa--gfx1201
amdhsa.version:
  - 1
  - 2
...

	.end_amdgpu_metadata
